;; amdgpu-corpus repo=ROCm/rocFFT kind=compiled arch=gfx906 opt=O3
	.text
	.amdgcn_target "amdgcn-amd-amdhsa--gfx906"
	.amdhsa_code_object_version 6
	.protected	fft_rtc_fwd_len1890_factors_2_3_3_3_7_5_wgs_126_tpt_126_halfLds_sp_ip_CI_unitstride_sbrr_C2R_dirReg ; -- Begin function fft_rtc_fwd_len1890_factors_2_3_3_3_7_5_wgs_126_tpt_126_halfLds_sp_ip_CI_unitstride_sbrr_C2R_dirReg
	.globl	fft_rtc_fwd_len1890_factors_2_3_3_3_7_5_wgs_126_tpt_126_halfLds_sp_ip_CI_unitstride_sbrr_C2R_dirReg
	.p2align	8
	.type	fft_rtc_fwd_len1890_factors_2_3_3_3_7_5_wgs_126_tpt_126_halfLds_sp_ip_CI_unitstride_sbrr_C2R_dirReg,@function
fft_rtc_fwd_len1890_factors_2_3_3_3_7_5_wgs_126_tpt_126_halfLds_sp_ip_CI_unitstride_sbrr_C2R_dirReg: ; @fft_rtc_fwd_len1890_factors_2_3_3_3_7_5_wgs_126_tpt_126_halfLds_sp_ip_CI_unitstride_sbrr_C2R_dirReg
; %bb.0:
	s_load_dwordx2 s[12:13], s[4:5], 0x50
	s_load_dwordx4 s[8:11], s[4:5], 0x0
	s_load_dwordx2 s[2:3], s[4:5], 0x18
	v_mul_u32_u24_e32 v1, 0x209, v0
	v_add_u32_sdwa v5, s6, v1 dst_sel:DWORD dst_unused:UNUSED_PAD src0_sel:DWORD src1_sel:WORD_1
	v_mov_b32_e32 v3, 0
	s_waitcnt lgkmcnt(0)
	v_cmp_lt_u64_e64 s[0:1], s[10:11], 2
	v_mov_b32_e32 v1, 0
	v_mov_b32_e32 v6, v3
	s_and_b64 vcc, exec, s[0:1]
	v_mov_b32_e32 v2, 0
	s_cbranch_vccnz .LBB0_8
; %bb.1:
	s_load_dwordx2 s[0:1], s[4:5], 0x10
	s_add_u32 s6, s2, 8
	s_addc_u32 s7, s3, 0
	v_mov_b32_e32 v1, 0
	v_mov_b32_e32 v2, 0
	s_waitcnt lgkmcnt(0)
	s_add_u32 s14, s0, 8
	s_addc_u32 s15, s1, 0
	s_mov_b64 s[16:17], 1
.LBB0_2:                                ; =>This Inner Loop Header: Depth=1
	s_load_dwordx2 s[18:19], s[14:15], 0x0
                                        ; implicit-def: $vgpr7_vgpr8
	s_waitcnt lgkmcnt(0)
	v_or_b32_e32 v4, s19, v6
	v_cmp_ne_u64_e32 vcc, 0, v[3:4]
	s_and_saveexec_b64 s[0:1], vcc
	s_xor_b64 s[20:21], exec, s[0:1]
	s_cbranch_execz .LBB0_4
; %bb.3:                                ;   in Loop: Header=BB0_2 Depth=1
	v_cvt_f32_u32_e32 v4, s18
	v_cvt_f32_u32_e32 v7, s19
	s_sub_u32 s0, 0, s18
	s_subb_u32 s1, 0, s19
	v_mac_f32_e32 v4, 0x4f800000, v7
	v_rcp_f32_e32 v4, v4
	v_mul_f32_e32 v4, 0x5f7ffffc, v4
	v_mul_f32_e32 v7, 0x2f800000, v4
	v_trunc_f32_e32 v7, v7
	v_mac_f32_e32 v4, 0xcf800000, v7
	v_cvt_u32_f32_e32 v7, v7
	v_cvt_u32_f32_e32 v4, v4
	v_mul_lo_u32 v8, s0, v7
	v_mul_hi_u32 v9, s0, v4
	v_mul_lo_u32 v11, s1, v4
	v_mul_lo_u32 v10, s0, v4
	v_add_u32_e32 v8, v9, v8
	v_add_u32_e32 v8, v8, v11
	v_mul_hi_u32 v9, v4, v10
	v_mul_lo_u32 v11, v4, v8
	v_mul_hi_u32 v13, v4, v8
	v_mul_hi_u32 v12, v7, v10
	v_mul_lo_u32 v10, v7, v10
	v_mul_hi_u32 v14, v7, v8
	v_add_co_u32_e32 v9, vcc, v9, v11
	v_addc_co_u32_e32 v11, vcc, 0, v13, vcc
	v_mul_lo_u32 v8, v7, v8
	v_add_co_u32_e32 v9, vcc, v9, v10
	v_addc_co_u32_e32 v9, vcc, v11, v12, vcc
	v_addc_co_u32_e32 v10, vcc, 0, v14, vcc
	v_add_co_u32_e32 v8, vcc, v9, v8
	v_addc_co_u32_e32 v9, vcc, 0, v10, vcc
	v_add_co_u32_e32 v4, vcc, v4, v8
	v_addc_co_u32_e32 v7, vcc, v7, v9, vcc
	v_mul_lo_u32 v8, s0, v7
	v_mul_hi_u32 v9, s0, v4
	v_mul_lo_u32 v10, s1, v4
	v_mul_lo_u32 v11, s0, v4
	v_add_u32_e32 v8, v9, v8
	v_add_u32_e32 v8, v8, v10
	v_mul_lo_u32 v12, v4, v8
	v_mul_hi_u32 v13, v4, v11
	v_mul_hi_u32 v14, v4, v8
	;; [unrolled: 1-line block ×3, first 2 shown]
	v_mul_lo_u32 v11, v7, v11
	v_mul_hi_u32 v9, v7, v8
	v_add_co_u32_e32 v12, vcc, v13, v12
	v_addc_co_u32_e32 v13, vcc, 0, v14, vcc
	v_mul_lo_u32 v8, v7, v8
	v_add_co_u32_e32 v11, vcc, v12, v11
	v_addc_co_u32_e32 v10, vcc, v13, v10, vcc
	v_addc_co_u32_e32 v9, vcc, 0, v9, vcc
	v_add_co_u32_e32 v8, vcc, v10, v8
	v_addc_co_u32_e32 v9, vcc, 0, v9, vcc
	v_add_co_u32_e32 v4, vcc, v4, v8
	v_addc_co_u32_e32 v9, vcc, v7, v9, vcc
	v_mad_u64_u32 v[7:8], s[0:1], v5, v9, 0
	v_mul_hi_u32 v10, v5, v4
	v_add_co_u32_e32 v11, vcc, v10, v7
	v_addc_co_u32_e32 v12, vcc, 0, v8, vcc
	v_mad_u64_u32 v[7:8], s[0:1], v6, v4, 0
	v_mad_u64_u32 v[9:10], s[0:1], v6, v9, 0
	v_add_co_u32_e32 v4, vcc, v11, v7
	v_addc_co_u32_e32 v4, vcc, v12, v8, vcc
	v_addc_co_u32_e32 v7, vcc, 0, v10, vcc
	v_add_co_u32_e32 v4, vcc, v4, v9
	v_addc_co_u32_e32 v9, vcc, 0, v7, vcc
	v_mul_lo_u32 v10, s19, v4
	v_mul_lo_u32 v11, s18, v9
	v_mad_u64_u32 v[7:8], s[0:1], s18, v4, 0
	v_add3_u32 v8, v8, v11, v10
	v_sub_u32_e32 v10, v6, v8
	v_mov_b32_e32 v11, s19
	v_sub_co_u32_e32 v7, vcc, v5, v7
	v_subb_co_u32_e64 v10, s[0:1], v10, v11, vcc
	v_subrev_co_u32_e64 v11, s[0:1], s18, v7
	v_subbrev_co_u32_e64 v10, s[0:1], 0, v10, s[0:1]
	v_cmp_le_u32_e64 s[0:1], s19, v10
	v_cndmask_b32_e64 v12, 0, -1, s[0:1]
	v_cmp_le_u32_e64 s[0:1], s18, v11
	v_cndmask_b32_e64 v11, 0, -1, s[0:1]
	v_cmp_eq_u32_e64 s[0:1], s19, v10
	v_cndmask_b32_e64 v10, v12, v11, s[0:1]
	v_add_co_u32_e64 v11, s[0:1], 2, v4
	v_addc_co_u32_e64 v12, s[0:1], 0, v9, s[0:1]
	v_add_co_u32_e64 v13, s[0:1], 1, v4
	v_addc_co_u32_e64 v14, s[0:1], 0, v9, s[0:1]
	v_subb_co_u32_e32 v8, vcc, v6, v8, vcc
	v_cmp_ne_u32_e64 s[0:1], 0, v10
	v_cmp_le_u32_e32 vcc, s19, v8
	v_cndmask_b32_e64 v10, v14, v12, s[0:1]
	v_cndmask_b32_e64 v12, 0, -1, vcc
	v_cmp_le_u32_e32 vcc, s18, v7
	v_cndmask_b32_e64 v7, 0, -1, vcc
	v_cmp_eq_u32_e32 vcc, s19, v8
	v_cndmask_b32_e32 v7, v12, v7, vcc
	v_cmp_ne_u32_e32 vcc, 0, v7
	v_cndmask_b32_e64 v7, v13, v11, s[0:1]
	v_cndmask_b32_e32 v8, v9, v10, vcc
	v_cndmask_b32_e32 v7, v4, v7, vcc
.LBB0_4:                                ;   in Loop: Header=BB0_2 Depth=1
	s_andn2_saveexec_b64 s[0:1], s[20:21]
	s_cbranch_execz .LBB0_6
; %bb.5:                                ;   in Loop: Header=BB0_2 Depth=1
	v_cvt_f32_u32_e32 v4, s18
	s_sub_i32 s20, 0, s18
	v_rcp_iflag_f32_e32 v4, v4
	v_mul_f32_e32 v4, 0x4f7ffffe, v4
	v_cvt_u32_f32_e32 v4, v4
	v_mul_lo_u32 v7, s20, v4
	v_mul_hi_u32 v7, v4, v7
	v_add_u32_e32 v4, v4, v7
	v_mul_hi_u32 v4, v5, v4
	v_mul_lo_u32 v7, v4, s18
	v_add_u32_e32 v8, 1, v4
	v_sub_u32_e32 v7, v5, v7
	v_subrev_u32_e32 v9, s18, v7
	v_cmp_le_u32_e32 vcc, s18, v7
	v_cndmask_b32_e32 v7, v7, v9, vcc
	v_cndmask_b32_e32 v4, v4, v8, vcc
	v_add_u32_e32 v8, 1, v4
	v_cmp_le_u32_e32 vcc, s18, v7
	v_cndmask_b32_e32 v7, v4, v8, vcc
	v_mov_b32_e32 v8, v3
.LBB0_6:                                ;   in Loop: Header=BB0_2 Depth=1
	s_or_b64 exec, exec, s[0:1]
	v_mul_lo_u32 v4, v8, s18
	v_mul_lo_u32 v11, v7, s19
	v_mad_u64_u32 v[9:10], s[0:1], v7, s18, 0
	s_load_dwordx2 s[0:1], s[6:7], 0x0
	s_add_u32 s16, s16, 1
	v_add3_u32 v4, v10, v11, v4
	v_sub_co_u32_e32 v5, vcc, v5, v9
	v_subb_co_u32_e32 v4, vcc, v6, v4, vcc
	s_waitcnt lgkmcnt(0)
	v_mul_lo_u32 v4, s0, v4
	v_mul_lo_u32 v6, s1, v5
	v_mad_u64_u32 v[1:2], s[0:1], s0, v5, v[1:2]
	s_addc_u32 s17, s17, 0
	s_add_u32 s6, s6, 8
	v_add3_u32 v2, v6, v2, v4
	v_mov_b32_e32 v4, s10
	v_mov_b32_e32 v5, s11
	s_addc_u32 s7, s7, 0
	v_cmp_ge_u64_e32 vcc, s[16:17], v[4:5]
	s_add_u32 s14, s14, 8
	s_addc_u32 s15, s15, 0
	s_cbranch_vccnz .LBB0_9
; %bb.7:                                ;   in Loop: Header=BB0_2 Depth=1
	v_mov_b32_e32 v5, v7
	v_mov_b32_e32 v6, v8
	s_branch .LBB0_2
.LBB0_8:
	v_mov_b32_e32 v8, v6
	v_mov_b32_e32 v7, v5
.LBB0_9:
	s_lshl_b64 s[0:1], s[10:11], 3
	s_add_u32 s0, s2, s0
	s_addc_u32 s1, s3, s1
	s_load_dwordx2 s[2:3], s[0:1], 0x0
	s_load_dwordx2 s[6:7], s[4:5], 0x20
	s_waitcnt lgkmcnt(0)
	v_mad_u64_u32 v[1:2], s[0:1], s2, v7, v[1:2]
	v_mul_lo_u32 v3, s2, v8
	v_mul_lo_u32 v4, s3, v7
	s_mov_b32 s0, 0x2082083
	v_mul_hi_u32 v5, v0, s0
	v_cmp_gt_u64_e64 s[0:1], s[6:7], v[7:8]
	v_add3_u32 v2, v4, v2, v3
	v_lshlrev_b64 v[32:33], 3, v[1:2]
	v_mul_u32_u24_e32 v3, 0x7e, v5
	v_sub_u32_e32 v30, v0, v3
	s_and_saveexec_b64 s[2:3], s[0:1]
	s_cbranch_execz .LBB0_13
; %bb.10:
	v_mov_b32_e32 v31, 0
	v_mov_b32_e32 v0, s13
	v_add_co_u32_e32 v1, vcc, s12, v32
	v_lshlrev_b64 v[2:3], 3, v[30:31]
	v_addc_co_u32_e32 v0, vcc, v0, v33, vcc
	v_add_co_u32_e32 v2, vcc, v1, v2
	v_addc_co_u32_e32 v3, vcc, v0, v3, vcc
	s_movk_i32 s4, 0x1000
	v_add_co_u32_e32 v6, vcc, s4, v2
	v_addc_co_u32_e32 v7, vcc, 0, v3, vcc
	s_movk_i32 s4, 0x2000
	v_add_co_u32_e32 v22, vcc, s4, v2
	v_addc_co_u32_e32 v23, vcc, 0, v3, vcc
	global_load_dwordx2 v[4:5], v[2:3], off offset:3024
	global_load_dwordx2 v[8:9], v[2:3], off offset:4032
	;; [unrolled: 1-line block ×5, first 2 shown]
	global_load_dwordx2 v[16:17], v[2:3], off
	global_load_dwordx2 v[18:19], v[2:3], off offset:2016
	global_load_dwordx2 v[20:21], v[2:3], off offset:1008
	v_add_co_u32_e32 v2, vcc, 0x3000, v2
	v_addc_co_u32_e32 v3, vcc, 0, v3, vcc
	global_load_dwordx2 v[24:25], v[6:7], off offset:3968
	global_load_dwordx2 v[26:27], v[22:23], off offset:880
	global_load_dwordx2 v[28:29], v[22:23], off offset:1888
	global_load_dwordx2 v[34:35], v[22:23], off offset:2896
	global_load_dwordx2 v[36:37], v[22:23], off offset:3904
	global_load_dwordx2 v[38:39], v[2:3], off offset:816
	global_load_dwordx2 v[40:41], v[2:3], off offset:1824
	v_lshl_add_u32 v2, v30, 3, 0
	s_movk_i32 s4, 0x7d
	v_add_u32_e32 v3, 0x400, v2
	v_cmp_eq_u32_e32 vcc, s4, v30
	v_add_u32_e32 v6, 0xc00, v2
	v_add_u32_e32 v7, 0x1400, v2
	;; [unrolled: 1-line block ×5, first 2 shown]
	s_waitcnt vmcnt(8)
	ds_write2_b64 v3, v[18:19], v[4:5] offset0:124 offset1:250
	s_waitcnt vmcnt(7)
	ds_write2_b64 v2, v[16:17], v[20:21] offset1:126
	ds_write2_b64 v6, v[8:9], v[10:11] offset0:120 offset1:246
	ds_write2_b64 v7, v[12:13], v[14:15] offset0:116 offset1:242
	s_waitcnt vmcnt(5)
	ds_write2_b64 v22, v[24:25], v[26:27] offset0:112 offset1:238
	s_waitcnt vmcnt(3)
	;; [unrolled: 2-line block ×4, first 2 shown]
	ds_write_b64 v2, v[40:41] offset:14112
	s_and_saveexec_b64 s[4:5], vcc
	s_cbranch_execz .LBB0_12
; %bb.11:
	v_add_co_u32_e32 v1, vcc, 0x3000, v1
	v_addc_co_u32_e32 v2, vcc, 0, v0, vcc
	global_load_dwordx2 v[0:1], v[1:2], off offset:2832
	v_mov_b32_e32 v30, 0x7d
	s_waitcnt vmcnt(0)
	ds_write_b64 v31, v[0:1] offset:15120
.LBB0_12:
	s_or_b64 exec, exec, s[4:5]
.LBB0_13:
	s_or_b64 exec, exec, s[2:3]
	v_lshlrev_b32_e32 v5, 3, v30
	v_add_u32_e32 v46, 0, v5
	s_waitcnt lgkmcnt(0)
	s_barrier
	v_sub_u32_e32 v4, 0, v5
	ds_read_b32 v6, v46
	ds_read_b32 v7, v4 offset:15120
	s_add_u32 s4, s8, 0x3b00
	s_addc_u32 s5, s9, 0
	v_cmp_ne_u32_e32 vcc, 0, v30
                                        ; implicit-def: $vgpr0_vgpr1
	s_waitcnt lgkmcnt(0)
	v_add_f32_e32 v2, v7, v6
	v_sub_f32_e32 v3, v6, v7
	s_and_saveexec_b64 s[2:3], vcc
	s_xor_b64 s[2:3], exec, s[2:3]
	s_cbranch_execz .LBB0_15
; %bb.14:
	v_mov_b32_e32 v31, 0
	v_lshlrev_b64 v[0:1], 3, v[30:31]
	v_mov_b32_e32 v2, s5
	v_add_co_u32_e32 v0, vcc, s4, v0
	v_addc_co_u32_e32 v1, vcc, v2, v1, vcc
	global_load_dwordx2 v[0:1], v[0:1], off
	ds_read_b32 v2, v4 offset:15124
	ds_read_b32 v3, v46 offset:4
	v_add_f32_e32 v8, v7, v6
	v_sub_f32_e32 v9, v6, v7
	s_waitcnt lgkmcnt(0)
	v_add_f32_e32 v10, v2, v3
	v_sub_f32_e32 v2, v3, v2
	s_waitcnt vmcnt(0)
	v_fma_f32 v11, v9, v1, v8
	v_fma_f32 v3, v10, v1, v2
	v_fma_f32 v6, -v9, v1, v8
	v_fma_f32 v7, v10, v1, -v2
	v_fma_f32 v2, -v0, v10, v11
	v_fmac_f32_e32 v3, v9, v0
	v_fmac_f32_e32 v6, v0, v10
	;; [unrolled: 1-line block ×3, first 2 shown]
	v_mov_b32_e32 v0, v30
	ds_write_b64 v4, v[6:7] offset:15120
	v_mov_b32_e32 v1, v31
.LBB0_15:
	s_andn2_saveexec_b64 s[2:3], s[2:3]
	s_cbranch_execz .LBB0_17
; %bb.16:
	v_mov_b32_e32 v8, 0
	ds_read_b64 v[0:1], v8 offset:7560
	s_waitcnt lgkmcnt(0)
	v_add_f32_e32 v6, v0, v0
	v_mul_f32_e32 v7, -2.0, v1
	v_mov_b32_e32 v0, 0
	v_mov_b32_e32 v1, 0
	ds_write_b64 v8, v[6:7] offset:7560
.LBB0_17:
	s_or_b64 exec, exec, s[2:3]
	v_lshlrev_b64 v[0:1], 3, v[0:1]
	v_mov_b32_e32 v6, s5
	v_add_co_u32_e32 v0, vcc, s4, v0
	v_addc_co_u32_e32 v1, vcc, v6, v1, vcc
	global_load_dwordx2 v[6:7], v[0:1], off offset:1008
	global_load_dwordx2 v[8:9], v[0:1], off offset:2016
	;; [unrolled: 1-line block ×4, first 2 shown]
	s_movk_i32 s2, 0x1000
	v_add_co_u32_e32 v16, vcc, s2, v0
	ds_write_b64 v46, v[2:3]
	v_addc_co_u32_e32 v17, vcc, 0, v1, vcc
	ds_read_b64 v[2:3], v46 offset:1008
	ds_read_b64 v[14:15], v4 offset:14112
	global_load_dwordx2 v[18:19], v[16:17], off offset:944
	v_cmp_gt_u32_e64 s[2:3], 63, v30
	s_waitcnt lgkmcnt(0)
	v_add_f32_e32 v20, v2, v14
	v_add_f32_e32 v21, v15, v3
	v_sub_f32_e32 v22, v2, v14
	v_sub_f32_e32 v2, v3, v15
	s_waitcnt vmcnt(4)
	v_fma_f32 v23, v22, v7, v20
	v_fma_f32 v3, v21, v7, v2
	v_fma_f32 v14, -v22, v7, v20
	v_fma_f32 v15, v21, v7, -v2
	v_fma_f32 v2, -v6, v21, v23
	v_fmac_f32_e32 v3, v22, v6
	v_fmac_f32_e32 v14, v6, v21
	;; [unrolled: 1-line block ×3, first 2 shown]
	ds_write_b64 v46, v[2:3] offset:1008
	ds_write_b64 v4, v[14:15] offset:14112
	ds_read_b64 v[2:3], v46 offset:2016
	ds_read_b64 v[6:7], v4 offset:13104
	global_load_dwordx2 v[14:15], v[16:17], off offset:1952
	s_waitcnt lgkmcnt(0)
	v_add_f32_e32 v16, v2, v6
	v_add_f32_e32 v17, v7, v3
	v_sub_f32_e32 v20, v2, v6
	v_sub_f32_e32 v2, v3, v7
	s_waitcnt vmcnt(4)
	v_fma_f32 v21, v20, v9, v16
	v_fma_f32 v3, v17, v9, v2
	v_fma_f32 v6, -v20, v9, v16
	v_fma_f32 v7, v17, v9, -v2
	v_fma_f32 v2, -v8, v17, v21
	v_fmac_f32_e32 v3, v20, v8
	v_fmac_f32_e32 v6, v8, v17
	v_fmac_f32_e32 v7, v20, v8
	ds_write_b64 v46, v[2:3] offset:2016
	ds_write_b64 v4, v[6:7] offset:13104
	ds_read_b64 v[2:3], v46 offset:3024
	ds_read_b64 v[6:7], v4 offset:12096
	s_waitcnt lgkmcnt(0)
	v_add_f32_e32 v8, v2, v6
	v_add_f32_e32 v9, v7, v3
	v_sub_f32_e32 v16, v2, v6
	v_sub_f32_e32 v2, v3, v7
	s_waitcnt vmcnt(3)
	v_fma_f32 v17, v16, v11, v8
	v_fma_f32 v3, v9, v11, v2
	v_fma_f32 v6, -v16, v11, v8
	v_fma_f32 v7, v9, v11, -v2
	v_fma_f32 v2, -v10, v9, v17
	v_fmac_f32_e32 v3, v16, v10
	v_fmac_f32_e32 v6, v10, v9
	v_fmac_f32_e32 v7, v16, v10
	ds_write_b64 v46, v[2:3] offset:3024
	ds_write_b64 v4, v[6:7] offset:12096
	ds_read_b64 v[2:3], v46 offset:4032
	ds_read_b64 v[6:7], v4 offset:11088
	s_waitcnt lgkmcnt(0)
	v_add_f32_e32 v8, v2, v6
	v_add_f32_e32 v9, v7, v3
	v_sub_f32_e32 v10, v2, v6
	v_sub_f32_e32 v2, v3, v7
	s_waitcnt vmcnt(2)
	v_fma_f32 v11, v10, v13, v8
	v_fma_f32 v3, v9, v13, v2
	v_fma_f32 v6, -v10, v13, v8
	v_fma_f32 v7, v9, v13, -v2
	v_fma_f32 v2, -v12, v9, v11
	v_fmac_f32_e32 v3, v10, v12
	v_fmac_f32_e32 v6, v12, v9
	v_fmac_f32_e32 v7, v10, v12
	ds_write_b64 v46, v[2:3] offset:4032
	ds_write_b64 v4, v[6:7] offset:11088
	ds_read_b64 v[2:3], v46 offset:5040
	ds_read_b64 v[6:7], v4 offset:10080
	s_waitcnt lgkmcnt(0)
	v_add_f32_e32 v8, v2, v6
	v_add_f32_e32 v9, v7, v3
	v_sub_f32_e32 v10, v2, v6
	v_sub_f32_e32 v2, v3, v7
	s_waitcnt vmcnt(1)
	v_fma_f32 v11, v10, v19, v8
	v_fma_f32 v3, v9, v19, v2
	v_fma_f32 v6, -v10, v19, v8
	v_fma_f32 v7, v9, v19, -v2
	v_fma_f32 v2, -v18, v9, v11
	v_fmac_f32_e32 v3, v10, v18
	v_fmac_f32_e32 v6, v18, v9
	v_fmac_f32_e32 v7, v10, v18
	ds_write_b64 v46, v[2:3] offset:5040
	ds_write_b64 v4, v[6:7] offset:10080
	ds_read_b64 v[2:3], v46 offset:6048
	ds_read_b64 v[6:7], v4 offset:9072
	s_waitcnt lgkmcnt(0)
	v_add_f32_e32 v8, v2, v6
	v_add_f32_e32 v9, v7, v3
	v_sub_f32_e32 v10, v2, v6
	v_sub_f32_e32 v2, v3, v7
	s_waitcnt vmcnt(0)
	v_fma_f32 v11, v10, v15, v8
	v_fma_f32 v3, v9, v15, v2
	v_fma_f32 v6, -v10, v15, v8
	v_fma_f32 v7, v9, v15, -v2
	v_fma_f32 v2, -v14, v9, v11
	v_fmac_f32_e32 v3, v10, v14
	v_fmac_f32_e32 v6, v14, v9
	;; [unrolled: 1-line block ×3, first 2 shown]
	ds_write_b64 v46, v[2:3] offset:6048
	ds_write_b64 v4, v[6:7] offset:9072
	s_and_saveexec_b64 s[4:5], s[2:3]
	s_cbranch_execz .LBB0_19
; %bb.18:
	v_add_co_u32_e32 v0, vcc, 0x1000, v0
	v_addc_co_u32_e32 v1, vcc, 0, v1, vcc
	global_load_dwordx2 v[0:1], v[0:1], off offset:2960
	ds_read_b64 v[2:3], v46 offset:7056
	ds_read_b64 v[6:7], v4 offset:8064
	s_waitcnt lgkmcnt(0)
	v_add_f32_e32 v8, v2, v6
	v_add_f32_e32 v9, v7, v3
	v_sub_f32_e32 v10, v2, v6
	v_sub_f32_e32 v3, v3, v7
	s_waitcnt vmcnt(0)
	v_fma_f32 v11, v10, v1, v8
	v_fma_f32 v2, v9, v1, v3
	v_fma_f32 v6, -v10, v1, v8
	v_fma_f32 v7, v9, v1, -v3
	v_fma_f32 v1, -v0, v9, v11
	v_fmac_f32_e32 v2, v10, v0
	v_fmac_f32_e32 v6, v0, v9
	;; [unrolled: 1-line block ×3, first 2 shown]
	ds_write_b64 v46, v[1:2] offset:7056
	ds_write_b64 v4, v[6:7] offset:8064
.LBB0_19:
	s_or_b64 exec, exec, s[4:5]
	v_add_u32_e32 v8, 0x1c00, v46
	s_waitcnt lgkmcnt(0)
	s_barrier
	s_barrier
	ds_read2_b64 v[13:16], v46 offset1:126
	ds_read2_b64 v[17:20], v8 offset0:49 offset1:175
	v_add_u32_e32 v4, 0x400, v46
	ds_read2_b64 v[21:24], v4 offset0:124 offset1:250
	v_add_u32_e32 v0, 0x3400, v46
	v_add_u32_e32 v7, 0x2400, v46
	s_waitcnt lgkmcnt(1)
	v_sub_f32_e32 v10, v13, v17
	v_sub_f32_e32 v11, v14, v18
	v_fma_f32 v13, v13, 2.0, -v10
	v_fma_f32 v14, v14, 2.0, -v11
	v_add_u32_e32 v17, v46, v5
	v_add_u32_e32 v6, 0xc00, v46
	;; [unrolled: 1-line block ×4, first 2 shown]
	ds_read2_b64 v[25:28], v0 offset0:37 offset1:163
	ds_read2_b64 v[34:37], v7 offset0:45 offset1:171
	ds_read2_b64 v[38:41], v6 offset0:120 offset1:246
	ds_read2_b64 v[42:45], v9 offset0:41 offset1:167
	ds_read2_b64 v[0:3], v12 offset0:116 offset1:242
	s_waitcnt lgkmcnt(0)
	s_barrier
	ds_write2_b64 v17, v[13:14], v[10:11] offset1:1
	v_sub_f32_e32 v10, v15, v19
	v_sub_f32_e32 v11, v16, v20
	v_add_u32_e32 v47, 0x7e, v30
	v_fma_f32 v13, v15, 2.0, -v10
	v_fma_f32 v14, v16, 2.0, -v11
	v_lshl_add_u32 v15, v47, 4, 0
	ds_write2_b64 v15, v[13:14], v[10:11] offset1:1
	v_sub_f32_e32 v10, v21, v34
	v_sub_f32_e32 v11, v22, v35
	v_add_u32_e32 v31, 0xfc, v30
	v_fma_f32 v13, v21, 2.0, -v10
	v_fma_f32 v14, v22, 2.0, -v11
	v_lshl_add_u32 v15, v31, 4, 0
	;; [unrolled: 7-line block ×4, first 2 shown]
	ds_write2_b64 v17, v[15:16], v[13:14] offset1:1
	v_sub_f32_e32 v13, v40, v44
	v_sub_f32_e32 v14, v41, v45
	v_lshl_add_u32 v19, v30, 4, 0
	v_fma_f32 v15, v40, 2.0, -v13
	v_fma_f32 v16, v41, 2.0, -v14
	v_sub_f32_e32 v17, v0, v25
	v_sub_f32_e32 v18, v1, v26
	v_add_u32_e32 v20, 0x2760, v19
	v_sub_f32_e32 v34, v2, v27
	v_sub_f32_e32 v35, v3, v28
	ds_write2_b64 v20, v[15:16], v[13:14] offset1:1
	v_fma_f32 v0, v0, 2.0, -v17
	v_fma_f32 v1, v1, 2.0, -v18
	v_add_u32_e32 v13, 0x2f40, v19
	ds_write2_b64 v13, v[0:1], v[17:18] offset1:1
	s_and_saveexec_b64 s[4:5], s[2:3]
	s_cbranch_execz .LBB0_21
; %bb.20:
	s_movk_i32 s2, 0x3720
	v_fma_f32 v1, v3, 2.0, -v35
	v_fma_f32 v0, v2, 2.0, -v34
	v_add3_u32 v2, v46, v5, s2
	ds_write2_b64 v2, v[0:1], v[34:35] offset1:1
.LBB0_21:
	s_or_b64 exec, exec, s[4:5]
	v_and_b32_e32 v29, 1, v30
	v_lshlrev_b32_e32 v0, 4, v29
	s_waitcnt lgkmcnt(0)
	s_barrier
	global_load_dwordx4 v[0:3], v0, s[8:9]
	ds_read2_b64 v[13:16], v6 offset0:120 offset1:246
	ds_read2_b64 v[17:20], v7 offset0:108 offset1:234
	;; [unrolled: 1-line block ×3, first 2 shown]
	ds_read2_b32 v[44:45], v9 offset0:208 offset1:209
	ds_read2_b64 v[25:28], v8 offset0:112 offset1:238
	v_add_u32_e32 v5, 0x3000, v46
	ds_read2_b64 v[36:39], v46 offset1:126
	ds_read2_b64 v[40:43], v4 offset0:124 offset1:250
	ds_read2_b64 v[48:51], v5 offset0:102 offset1:228
	v_lshrrev_b32_e32 v12, 1, v30
	v_mul_u32_u24_e32 v12, 6, v12
	v_or_b32_e32 v12, v12, v29
	v_lshl_add_u32 v12, v12, 3, 0
	s_waitcnt vmcnt(0) lgkmcnt(0)
	s_barrier
	s_mov_b32 s2, 0xaaab
	v_cmp_gt_u32_e32 vcc, 18, v30
	v_mul_f32_e32 v52, v3, v18
	v_mul_f32_e32 v53, v3, v17
	;; [unrolled: 1-line block ×20, first 2 shown]
	v_fma_f32 v3, v2, v17, -v52
	v_fmac_f32_e32 v53, v2, v18
	v_fma_f32 v15, v0, v15, -v68
	v_fmac_f32_e32 v1, v0, v16
	;; [unrolled: 2-line block ×10, first 2 shown]
	v_add_f32_e32 v0, v37, v1
	v_add_f32_e32 v16, v1, v53
	;; [unrolled: 1-line block ×4, first 2 shown]
	v_sub_f32_e32 v27, v1, v53
	v_sub_f32_e32 v28, v15, v3
	v_add_f32_e32 v1, v0, v53
	v_add_f32_e32 v0, v2, v3
	v_fma_f32 v2, -0.5, v17, v36
	v_fma_f32 v3, -0.5, v16, v37
	v_mov_b32_e32 v16, v2
	v_mov_b32_e32 v17, v3
	v_fmac_f32_e32 v16, 0x3f5db3d7, v27
	v_fmac_f32_e32 v17, 0xbf5db3d7, v28
	ds_write2_b64 v12, v[0:1], v[16:17] offset1:2
	v_add_f32_e32 v0, v57, v55
	v_add_f32_e32 v15, v38, v20
	;; [unrolled: 1-line block ×3, first 2 shown]
	v_fmac_f32_e32 v39, -0.5, v0
	v_add_f32_e32 v18, v20, v19
	v_add_f32_e32 v15, v15, v19
	v_sub_f32_e32 v0, v20, v19
	v_mov_b32_e32 v19, v39
	v_lshrrev_b32_e32 v1, 1, v47
	v_fmac_f32_e32 v19, 0xbf5db3d7, v0
	v_fmac_f32_e32 v39, 0x3f5db3d7, v0
	v_add_f32_e32 v0, v21, v24
	v_mul_u32_u24_e32 v1, 6, v1
	v_fma_f32 v38, -0.5, v18, v38
	v_fmac_f32_e32 v2, 0xbf5db3d7, v27
	v_fmac_f32_e32 v3, 0x3f5db3d7, v28
	v_or_b32_e32 v1, v1, v29
	v_fma_f32 v0, -0.5, v0, v40
	v_sub_f32_e32 v44, v57, v55
	v_mov_b32_e32 v18, v38
	ds_write_b64 v12, v[2:3] offset:32
	v_lshl_add_u32 v12, v1, 3, 0
	v_sub_f32_e32 v1, v59, v70
	v_mov_b32_e32 v2, v0
	v_fmac_f32_e32 v18, 0x3f5db3d7, v44
	v_add_f32_e32 v16, v45, v55
	v_fmac_f32_e32 v2, 0x3f5db3d7, v1
	v_fmac_f32_e32 v0, 0xbf5db3d7, v1
	v_add_f32_e32 v1, v40, v21
	ds_write2_b64 v12, v[15:16], v[18:19] offset1:2
	v_add_f32_e32 v15, v1, v24
	v_add_f32_e32 v1, v41, v59
	;; [unrolled: 1-line block ×4, first 2 shown]
	v_fma_f32 v1, -0.5, v1, v41
	v_sub_f32_e32 v17, v21, v24
	v_mov_b32_e32 v3, v1
	v_fmac_f32_e32 v3, 0xbf5db3d7, v17
	v_fmac_f32_e32 v1, 0x3f5db3d7, v17
	v_add_f32_e32 v17, v22, v23
	v_add_f32_e32 v18, v42, v22
	v_fma_f32 v42, -0.5, v17, v42
	v_fmac_f32_e32 v38, 0xbf5db3d7, v44
	v_sub_f32_e32 v19, v61, v65
	v_mov_b32_e32 v17, v42
	v_fmac_f32_e32 v17, 0x3f5db3d7, v19
	v_fmac_f32_e32 v42, 0xbf5db3d7, v19
	v_add_f32_e32 v19, v18, v23
	v_add_f32_e32 v18, v43, v61
	ds_write_b64 v12, v[38:39] offset:32
	v_lshrrev_b32_e32 v12, 1, v31
	v_add_f32_e32 v20, v18, v65
	v_add_f32_e32 v18, v61, v65
	v_mul_u32_u24_e32 v12, 6, v12
	v_fmac_f32_e32 v43, -0.5, v18
	v_or_b32_e32 v12, v12, v29
	v_sub_f32_e32 v21, v22, v23
	v_mov_b32_e32 v18, v43
	v_lshl_add_u32 v12, v12, 3, 0
	v_fmac_f32_e32 v18, 0xbf5db3d7, v21
	v_fmac_f32_e32 v43, 0x3f5db3d7, v21
	v_add_f32_e32 v21, v25, v26
	ds_write2_b64 v12, v[15:16], v[2:3] offset1:2
	ds_write_b64 v12, v[0:1] offset:32
	v_lshrrev_b32_e32 v0, 1, v11
	v_add_f32_e32 v22, v13, v25
	v_fma_f32 v13, -0.5, v21, v13
	v_mul_u32_u24_e32 v0, 6, v0
	v_sub_f32_e32 v23, v63, v67
	v_mov_b32_e32 v21, v13
	v_or_b32_e32 v0, v0, v29
	v_fmac_f32_e32 v21, 0x3f5db3d7, v23
	v_fmac_f32_e32 v13, 0xbf5db3d7, v23
	v_add_f32_e32 v23, v22, v26
	v_add_f32_e32 v22, v14, v63
	v_lshl_add_u32 v0, v0, 3, 0
	v_add_f32_e32 v24, v22, v67
	v_add_f32_e32 v22, v63, v67
	ds_write2_b64 v0, v[19:20], v[17:18] offset1:2
	ds_write_b64 v0, v[42:43] offset:32
	v_lshrrev_b32_e32 v0, 1, v10
	v_fmac_f32_e32 v14, -0.5, v22
	v_mul_u32_u24_e32 v0, 6, v0
	v_sub_f32_e32 v25, v25, v26
	v_mov_b32_e32 v22, v14
	v_or_b32_e32 v0, v0, v29
	v_fmac_f32_e32 v22, 0xbf5db3d7, v25
	v_lshl_add_u32 v0, v0, 3, 0
	v_fmac_f32_e32 v14, 0x3f5db3d7, v25
	ds_write2_b64 v0, v[23:24], v[21:22] offset1:2
	ds_write_b64 v0, v[13:14] offset:32
	v_mul_u32_u24_sdwa v0, v31, s2 dst_sel:DWORD dst_unused:UNUSED_PAD src0_sel:WORD_0 src1_sel:DWORD
	v_lshrrev_b32_e32 v29, 18, v0
	v_mul_lo_u16_e32 v0, 6, v29
	v_sub_u16_e32 v49, v31, v0
	v_mul_u32_u24_sdwa v12, v11, s2 dst_sel:DWORD dst_unused:UNUSED_PAD src0_sel:WORD_0 src1_sel:DWORD
	v_lshlrev_b32_e32 v0, 4, v49
	v_lshrrev_b32_e32 v50, 18, v12
	s_waitcnt lgkmcnt(0)
	s_barrier
	global_load_dwordx4 v[0:3], v0, s[8:9] offset:32
	v_mul_lo_u16_e32 v12, 6, v50
	v_sub_u16_e32 v51, v11, v12
	v_lshlrev_b32_e32 v12, 4, v51
	global_load_dwordx4 v[13:16], v12, s[8:9] offset:32
	v_mul_u32_u24_sdwa v12, v10, s2 dst_sel:DWORD dst_unused:UNUSED_PAD src0_sel:WORD_0 src1_sel:DWORD
	v_lshrrev_b32_e32 v52, 18, v12
	v_mul_lo_u16_e32 v12, 6, v52
	v_sub_u16_e32 v53, v10, v12
	v_lshlrev_b32_e32 v12, 4, v53
	s_movk_i32 s2, 0xab
	global_load_dwordx4 v[17:20], v12, s[8:9] offset:32
	v_mul_lo_u16_sdwa v12, v47, s2 dst_sel:DWORD dst_unused:UNUSED_PAD src0_sel:BYTE_0 src1_sel:DWORD
	v_lshrrev_b16_e32 v55, 10, v12
	v_mul_lo_u16_e32 v12, 6, v55
	v_mov_b32_e32 v54, 4
	v_sub_u16_e32 v56, v47, v12
	v_lshlrev_b32_sdwa v12, v54, v56 dst_sel:DWORD dst_unused:UNUSED_PAD src0_sel:DWORD src1_sel:BYTE_0
	global_load_dwordx4 v[21:24], v12, s[8:9] offset:32
	v_mul_lo_u16_sdwa v12, v30, s2 dst_sel:DWORD dst_unused:UNUSED_PAD src0_sel:BYTE_0 src1_sel:DWORD
	v_lshrrev_b16_e32 v48, 10, v12
	v_mul_lo_u16_e32 v12, 6, v48
	v_sub_u16_e32 v57, v30, v12
	v_lshlrev_b32_sdwa v12, v54, v57 dst_sel:DWORD dst_unused:UNUSED_PAD src0_sel:DWORD src1_sel:BYTE_0
	global_load_dwordx4 v[25:28], v12, s[8:9] offset:32
	v_add_u32_e32 v12, 0x1800, v46
	ds_read2_b32 v[44:45], v12 offset0:228 offset1:229
	ds_read2_b64 v[36:39], v9 offset0:104 offset1:230
	ds_read2_b64 v[40:43], v8 offset0:112 offset1:238
	s_mov_b32 s2, 0xe38f
	s_waitcnt vmcnt(4) lgkmcnt(2)
	v_mul_f32_e32 v58, v45, v1
	v_fma_f32 v58, v0, v44, -v58
	v_mul_f32_e32 v44, v1, v44
	v_fmac_f32_e32 v44, v45, v0
	s_waitcnt lgkmcnt(1)
	v_mul_f32_e32 v0, v37, v3
	v_fma_f32 v45, v36, v2, -v0
	v_mul_f32_e32 v36, v36, v3
	s_waitcnt vmcnt(3)
	v_mul_f32_e32 v0, v39, v16
	v_fmac_f32_e32 v36, v37, v2
	v_fma_f32 v37, v38, v15, -v0
	v_mul_f32_e32 v38, v38, v16
	s_waitcnt lgkmcnt(0)
	v_mul_f32_e32 v0, v41, v14
	v_fmac_f32_e32 v38, v39, v15
	v_fma_f32 v39, v40, v13, -v0
	ds_read_b64 v[0:1], v46 offset:14112
	v_mul_f32_e32 v40, v40, v14
	s_waitcnt vmcnt(2)
	v_mul_f32_e32 v2, v43, v18
	v_fmac_f32_e32 v40, v41, v13
	ds_read_b64 v[13:14], v46 offset:6048
	v_fma_f32 v41, v42, v17, -v2
	v_mul_f32_e32 v42, v42, v18
	s_waitcnt lgkmcnt(1)
	v_mul_f32_e32 v2, v1, v20
	v_mul_f32_e32 v59, v0, v20
	v_fmac_f32_e32 v42, v43, v17
	v_fma_f32 v43, v0, v19, -v2
	v_fmac_f32_e32 v59, v1, v19
	ds_read2_b64 v[0:3], v7 offset0:108 offset1:234
	s_waitcnt vmcnt(1) lgkmcnt(1)
	v_mul_f32_e32 v15, v22, v14
	v_fma_f32 v60, v21, v13, -v15
	v_mul_f32_e32 v61, v22, v13
	v_fmac_f32_e32 v61, v21, v14
	s_waitcnt lgkmcnt(0)
	v_mul_f32_e32 v13, v24, v3
	v_fma_f32 v62, v23, v2, -v13
	ds_read2_b64 v[13:16], v6 offset0:120 offset1:246
	v_mul_f32_e32 v24, v24, v2
	s_waitcnt vmcnt(0)
	v_mul_f32_e32 v2, v28, v1
	v_mul_f32_e32 v18, v28, v0
	v_fmac_f32_e32 v24, v23, v3
	v_fma_f32 v17, v27, v0, -v2
	v_fmac_f32_e32 v18, v27, v1
	ds_read2_b64 v[0:3], v46 offset1:126
	s_waitcnt lgkmcnt(1)
	v_mul_f32_e32 v19, v26, v16
	v_fma_f32 v21, v25, v15, -v19
	v_mul_f32_e32 v15, v26, v15
	v_fmac_f32_e32 v15, v25, v16
	s_waitcnt lgkmcnt(0)
	v_add_f32_e32 v16, v0, v21
	v_add_f32_e32 v19, v16, v17
	;; [unrolled: 1-line block ×4, first 2 shown]
	v_sub_f32_e32 v23, v15, v18
	v_add_f32_e32 v15, v15, v18
	v_add_f32_e32 v16, v21, v17
	v_fma_f32 v0, -0.5, v16, v0
	v_fma_f32 v1, -0.5, v15, v1
	v_mul_u32_u24_e32 v15, 0x90, v48
	v_mov_b32_e32 v48, 3
	v_sub_f32_e32 v25, v21, v17
	v_lshlrev_b32_sdwa v16, v48, v57 dst_sel:DWORD dst_unused:UNUSED_PAD src0_sel:DWORD src1_sel:BYTE_0
	v_mov_b32_e32 v21, v0
	v_mov_b32_e32 v22, v1
	v_add3_u32 v26, 0, v15, v16
	v_fmac_f32_e32 v21, 0x3f5db3d7, v23
	v_fmac_f32_e32 v22, 0xbf5db3d7, v25
	;; [unrolled: 1-line block ×4, first 2 shown]
	ds_read2_b64 v[15:18], v4 offset0:124 offset1:250
	s_waitcnt lgkmcnt(0)
	s_barrier
	ds_write2_b64 v26, v[19:20], v[21:22] offset1:6
	ds_write_b64 v26, v[0:1] offset:96
	v_add_f32_e32 v1, v60, v62
	v_add_f32_e32 v19, v61, v24
	;; [unrolled: 1-line block ×3, first 2 shown]
	v_fma_f32 v2, -0.5, v1, v2
	v_add_f32_e32 v1, v3, v61
	v_fmac_f32_e32 v3, -0.5, v19
	v_mul_u32_u24_e32 v19, 0x90, v55
	v_lshlrev_b32_sdwa v20, v48, v56 dst_sel:DWORD dst_unused:UNUSED_PAD src0_sel:DWORD src1_sel:BYTE_0
	v_sub_f32_e32 v21, v61, v24
	v_sub_f32_e32 v22, v60, v62
	v_add3_u32 v23, 0, v19, v20
	v_mov_b32_e32 v19, v2
	v_mov_b32_e32 v20, v3
	v_add_f32_e32 v0, v0, v62
	v_add_f32_e32 v1, v1, v24
	v_fmac_f32_e32 v19, 0x3f5db3d7, v21
	v_fmac_f32_e32 v20, 0xbf5db3d7, v22
	ds_write2_b64 v23, v[0:1], v[19:20] offset1:6
	v_add_f32_e32 v0, v58, v45
	v_fmac_f32_e32 v2, 0xbf5db3d7, v21
	v_fmac_f32_e32 v3, 0x3f5db3d7, v22
	v_fma_f32 v0, -0.5, v0, v15
	ds_write_b64 v23, v[2:3] offset:96
	v_sub_f32_e32 v1, v44, v36
	v_mov_b32_e32 v2, v0
	v_fmac_f32_e32 v2, 0x3f5db3d7, v1
	v_fmac_f32_e32 v0, 0xbf5db3d7, v1
	v_add_f32_e32 v1, v15, v58
	v_add_f32_e32 v19, v1, v45
	;; [unrolled: 1-line block ×5, first 2 shown]
	v_fma_f32 v1, -0.5, v1, v16
	v_sub_f32_e32 v15, v58, v45
	v_mov_b32_e32 v3, v1
	v_fmac_f32_e32 v3, 0xbf5db3d7, v15
	v_fmac_f32_e32 v1, 0x3f5db3d7, v15
	v_add_f32_e32 v15, v39, v37
	v_add_f32_e32 v16, v17, v39
	v_fma_f32 v17, -0.5, v15, v17
	v_sub_f32_e32 v21, v40, v38
	v_mov_b32_e32 v15, v17
	v_fmac_f32_e32 v15, 0x3f5db3d7, v21
	v_fmac_f32_e32 v17, 0xbf5db3d7, v21
	v_add_f32_e32 v21, v16, v37
	v_add_f32_e32 v16, v18, v40
	;; [unrolled: 1-line block ×4, first 2 shown]
	v_fmac_f32_e32 v18, -0.5, v16
	v_sub_f32_e32 v23, v39, v37
	v_mov_b32_e32 v16, v18
	v_fmac_f32_e32 v16, 0xbf5db3d7, v23
	v_fmac_f32_e32 v18, 0x3f5db3d7, v23
	v_add_f32_e32 v23, v41, v43
	v_add_f32_e32 v24, v13, v41
	v_fma_f32 v13, -0.5, v23, v13
	v_sub_f32_e32 v25, v42, v59
	v_mov_b32_e32 v23, v13
	v_fmac_f32_e32 v23, 0x3f5db3d7, v25
	v_fmac_f32_e32 v13, 0xbf5db3d7, v25
	v_add_f32_e32 v25, v24, v43
	v_add_f32_e32 v24, v14, v42
	;; [unrolled: 1-line block ×4, first 2 shown]
	v_fmac_f32_e32 v14, -0.5, v24
	v_sub_f32_e32 v27, v41, v43
	v_mov_b32_e32 v24, v14
	v_fmac_f32_e32 v24, 0xbf5db3d7, v27
	v_fmac_f32_e32 v14, 0x3f5db3d7, v27
	v_mul_u32_u24_e32 v27, 0x90, v29
	v_lshlrev_b32_e32 v28, 3, v49
	v_add3_u32 v27, 0, v27, v28
	ds_write2_b64 v27, v[19:20], v[2:3] offset1:6
	ds_write_b64 v27, v[0:1] offset:96
	v_mul_u32_u24_e32 v0, 0x90, v50
	v_lshlrev_b32_e32 v1, 3, v51
	v_add3_u32 v0, 0, v0, v1
	ds_write2_b64 v0, v[21:22], v[15:16] offset1:6
	ds_write_b64 v0, v[17:18] offset:96
	;; [unrolled: 5-line block ×3, first 2 shown]
	v_mul_u32_u24_sdwa v0, v31, s2 dst_sel:DWORD dst_unused:UNUSED_PAD src0_sel:WORD_0 src1_sel:DWORD
	v_lshrrev_b32_e32 v29, 20, v0
	v_mul_lo_u16_e32 v0, 18, v29
	v_sub_u16_e32 v42, v31, v0
	v_mul_u32_u24_sdwa v13, v11, s2 dst_sel:DWORD dst_unused:UNUSED_PAD src0_sel:WORD_0 src1_sel:DWORD
	v_lshlrev_b32_e32 v0, 4, v42
	v_lshrrev_b32_e32 v43, 20, v13
	s_waitcnt lgkmcnt(0)
	s_barrier
	global_load_dwordx4 v[0:3], v0, s[8:9] offset:128
	v_mul_lo_u16_e32 v13, 18, v43
	v_sub_u16_e32 v44, v11, v13
	v_lshlrev_b32_e32 v11, 4, v44
	global_load_dwordx4 v[13:16], v11, s[8:9] offset:128
	v_mul_u32_u24_sdwa v11, v10, s2 dst_sel:DWORD dst_unused:UNUSED_PAD src0_sel:WORD_0 src1_sel:DWORD
	v_lshrrev_b32_e32 v45, 20, v11
	v_mul_lo_u16_e32 v11, 18, v45
	v_sub_u16_e32 v49, v10, v11
	v_lshlrev_b32_e32 v10, 4, v49
	global_load_dwordx4 v[17:20], v10, s[8:9] offset:128
	v_mov_b32_e32 v10, 57
	v_mul_lo_u16_sdwa v11, v47, v10 dst_sel:DWORD dst_unused:UNUSED_PAD src0_sel:BYTE_0 src1_sel:DWORD
	v_lshrrev_b16_e32 v50, 10, v11
	v_mul_lo_u16_e32 v11, 18, v50
	v_sub_u16_e32 v51, v47, v11
	v_mul_lo_u16_sdwa v10, v30, v10 dst_sel:DWORD dst_unused:UNUSED_PAD src0_sel:BYTE_0 src1_sel:DWORD
	v_lshlrev_b32_sdwa v11, v54, v51 dst_sel:DWORD dst_unused:UNUSED_PAD src0_sel:DWORD src1_sel:BYTE_0
	v_lshrrev_b16_e32 v52, 10, v10
	global_load_dwordx4 v[21:24], v11, s[8:9] offset:128
	v_mul_lo_u16_e32 v10, 18, v52
	v_sub_u16_e32 v53, v30, v10
	v_lshlrev_b32_sdwa v10, v54, v53 dst_sel:DWORD dst_unused:UNUSED_PAD src0_sel:DWORD src1_sel:BYTE_0
	global_load_dwordx4 v[25:28], v10, s[8:9] offset:128
	ds_read2_b32 v[40:41], v12 offset0:228 offset1:229
	ds_read2_b64 v[36:39], v9 offset0:104 offset1:230
	ds_read2_b64 v[8:11], v8 offset0:112 offset1:238
	s_waitcnt vmcnt(4) lgkmcnt(2)
	v_mul_f32_e32 v54, v41, v1
	v_fma_f32 v54, v0, v40, -v54
	v_mul_f32_e32 v40, v1, v40
	v_fmac_f32_e32 v40, v41, v0
	s_waitcnt lgkmcnt(1)
	v_mul_f32_e32 v0, v37, v3
	v_fma_f32 v41, v36, v2, -v0
	v_mul_f32_e32 v36, v36, v3
	s_waitcnt vmcnt(3)
	v_mul_f32_e32 v0, v39, v16
	v_fmac_f32_e32 v36, v37, v2
	v_fma_f32 v37, v38, v15, -v0
	v_mul_f32_e32 v38, v38, v16
	s_waitcnt lgkmcnt(0)
	v_mul_f32_e32 v0, v9, v14
	v_fmac_f32_e32 v38, v39, v15
	v_fma_f32 v39, v8, v13, -v0
	ds_read_b64 v[0:1], v46 offset:14112
	s_waitcnt vmcnt(2)
	v_mul_f32_e32 v2, v11, v18
	v_mul_f32_e32 v55, v8, v14
	v_fma_f32 v56, v10, v17, -v2
	ds_read_b64 v[2:3], v46 offset:6048
	s_waitcnt lgkmcnt(1)
	v_mul_f32_e32 v8, v1, v20
	v_fmac_f32_e32 v55, v9, v13
	v_mul_f32_e32 v57, v10, v18
	v_fma_f32 v58, v0, v19, -v8
	ds_read2_b64 v[7:10], v7 offset0:108 offset1:234
	v_mul_f32_e32 v20, v0, v20
	s_waitcnt vmcnt(1) lgkmcnt(1)
	v_mul_f32_e32 v0, v22, v3
	v_fmac_f32_e32 v57, v11, v17
	v_fma_f32 v17, v21, v2, -v0
	v_mul_f32_e32 v18, v22, v2
	s_waitcnt lgkmcnt(0)
	v_mul_f32_e32 v0, v24, v10
	v_fmac_f32_e32 v20, v1, v19
	v_fmac_f32_e32 v18, v21, v3
	v_fma_f32 v19, v23, v9, -v0
	ds_read2_b64 v[0:3], v6 offset0:120 offset1:246
	v_mul_f32_e32 v21, v24, v9
	s_waitcnt vmcnt(0)
	v_mul_f32_e32 v9, v28, v8
	v_mul_f32_e32 v11, v28, v7
	v_fmac_f32_e32 v21, v23, v10
	v_fma_f32 v10, v27, v7, -v9
	v_fmac_f32_e32 v11, v27, v8
	ds_read2_b64 v[6:9], v46 offset1:126
	s_waitcnt lgkmcnt(1)
	v_mul_f32_e32 v14, v26, v2
	v_mul_f32_e32 v13, v26, v3
	v_fmac_f32_e32 v14, v25, v3
	v_fma_f32 v13, v25, v2, -v13
	s_waitcnt lgkmcnt(0)
	v_add_f32_e32 v3, v7, v14
	v_add_f32_e32 v2, v6, v13
	;; [unrolled: 1-line block ×3, first 2 shown]
	v_sub_f32_e32 v22, v14, v11
	v_add_f32_e32 v11, v14, v11
	v_add_f32_e32 v14, v13, v10
	;; [unrolled: 1-line block ×3, first 2 shown]
	v_fma_f32 v6, -0.5, v14, v6
	v_fma_f32 v7, -0.5, v11, v7
	v_sub_f32_e32 v23, v13, v10
	v_mul_u32_u24_e32 v10, 0x1b0, v52
	v_lshlrev_b32_sdwa v11, v48, v53 dst_sel:DWORD dst_unused:UNUSED_PAD src0_sel:DWORD src1_sel:BYTE_0
	v_add3_u32 v24, 0, v10, v11
	v_mov_b32_e32 v10, v6
	v_mov_b32_e32 v11, v7
	v_fmac_f32_e32 v10, 0x3f5db3d7, v22
	v_fmac_f32_e32 v11, 0xbf5db3d7, v23
	ds_read2_b64 v[13:16], v4 offset0:124 offset1:250
	s_waitcnt lgkmcnt(0)
	s_barrier
	ds_write2_b64 v24, v[2:3], v[10:11] offset1:18
	v_fmac_f32_e32 v6, 0xbf5db3d7, v22
	v_fmac_f32_e32 v7, 0x3f5db3d7, v23
	v_add_f32_e32 v3, v8, v17
	ds_write_b64 v24, v[6:7] offset:288
	v_add_f32_e32 v2, v17, v19
	v_add_f32_e32 v6, v3, v19
	;; [unrolled: 1-line block ×3, first 2 shown]
	v_fma_f32 v8, -0.5, v2, v8
	v_add_f32_e32 v7, v3, v21
	v_add_f32_e32 v3, v18, v21
	v_sub_f32_e32 v4, v18, v21
	v_mov_b32_e32 v2, v8
	v_fmac_f32_e32 v9, -0.5, v3
	v_fmac_f32_e32 v2, 0x3f5db3d7, v4
	v_fmac_f32_e32 v8, 0xbf5db3d7, v4
	v_sub_f32_e32 v4, v17, v19
	v_mov_b32_e32 v3, v9
	v_fmac_f32_e32 v3, 0xbf5db3d7, v4
	v_fmac_f32_e32 v9, 0x3f5db3d7, v4
	v_mul_u32_u24_e32 v4, 0x1b0, v50
	v_lshlrev_b32_sdwa v10, v48, v51 dst_sel:DWORD dst_unused:UNUSED_PAD src0_sel:DWORD src1_sel:BYTE_0
	v_add3_u32 v4, 0, v4, v10
	v_add_f32_e32 v10, v54, v41
	ds_write2_b64 v4, v[6:7], v[2:3] offset1:18
	v_fma_f32 v2, -0.5, v10, v13
	v_sub_f32_e32 v3, v40, v36
	v_mov_b32_e32 v6, v2
	v_fmac_f32_e32 v6, 0x3f5db3d7, v3
	v_fmac_f32_e32 v2, 0xbf5db3d7, v3
	v_add_f32_e32 v3, v13, v54
	v_add_f32_e32 v10, v3, v41
	;; [unrolled: 1-line block ×5, first 2 shown]
	v_fma_f32 v3, -0.5, v3, v14
	v_sub_f32_e32 v13, v54, v41
	v_mov_b32_e32 v7, v3
	v_fmac_f32_e32 v7, 0xbf5db3d7, v13
	v_fmac_f32_e32 v3, 0x3f5db3d7, v13
	v_add_f32_e32 v13, v39, v37
	v_add_f32_e32 v14, v15, v39
	v_fma_f32 v15, -0.5, v13, v15
	v_sub_f32_e32 v17, v55, v38
	v_mov_b32_e32 v13, v15
	v_fmac_f32_e32 v13, 0x3f5db3d7, v17
	v_fmac_f32_e32 v15, 0xbf5db3d7, v17
	v_add_f32_e32 v17, v14, v37
	v_add_f32_e32 v14, v16, v55
	;; [unrolled: 1-line block ×4, first 2 shown]
	v_fmac_f32_e32 v16, -0.5, v14
	v_sub_f32_e32 v19, v39, v37
	v_mov_b32_e32 v14, v16
	v_fmac_f32_e32 v14, 0xbf5db3d7, v19
	v_fmac_f32_e32 v16, 0x3f5db3d7, v19
	v_add_f32_e32 v19, v56, v58
	v_add_f32_e32 v21, v0, v56
	v_fma_f32 v0, -0.5, v19, v0
	v_sub_f32_e32 v22, v57, v20
	v_mov_b32_e32 v19, v0
	ds_write_b64 v4, v[8:9] offset:288
	v_mul_u32_u24_e32 v4, 0x1b0, v29
	v_lshlrev_b32_e32 v8, 3, v42
	v_fmac_f32_e32 v19, 0x3f5db3d7, v22
	v_fmac_f32_e32 v0, 0xbf5db3d7, v22
	v_add_f32_e32 v22, v1, v57
	v_add3_u32 v4, 0, v4, v8
	v_add_f32_e32 v22, v22, v20
	v_add_f32_e32 v20, v57, v20
	ds_write2_b64 v4, v[10:11], v[6:7] offset1:18
	ds_write_b64 v4, v[2:3] offset:288
	v_mul_u32_u24_e32 v2, 0x1b0, v43
	v_lshlrev_b32_e32 v3, 3, v44
	v_fmac_f32_e32 v1, -0.5, v20
	v_add3_u32 v2, 0, v2, v3
	v_sub_f32_e32 v23, v56, v58
	v_mov_b32_e32 v20, v1
	ds_write2_b64 v2, v[17:18], v[13:14] offset1:18
	ds_write_b64 v2, v[15:16] offset:288
	v_mul_u32_u24_e32 v2, 0x1b0, v45
	v_lshlrev_b32_e32 v3, 3, v49
	v_add_f32_e32 v21, v21, v58
	v_fmac_f32_e32 v20, 0xbf5db3d7, v23
	v_add3_u32 v2, 0, v2, v3
	v_fmac_f32_e32 v1, 0x3f5db3d7, v23
	ds_write2_b64 v2, v[21:22], v[19:20] offset1:18
	ds_write_b64 v2, v[0:1] offset:288
	v_add_u32_e32 v2, 0x800, v46
	s_waitcnt lgkmcnt(0)
	s_barrier
	ds_read2_b64 v[26:29], v2 offset0:14 offset1:140
	v_add_u32_e32 v2, 0x1000, v46
	ds_read2_b64 v[22:25], v2 offset0:28 offset1:154
	ds_read2_b64 v[18:21], v12 offset0:42 offset1:168
	v_add_u32_e32 v2, 0x2000, v46
	ds_read2_b64 v[14:17], v2 offset0:56 offset1:182
	v_add_u32_e32 v2, 0x2800, v46
	ds_read2_b64 v[6:9], v2 offset0:70 offset1:196
	ds_read2_b64 v[10:13], v5 offset0:84 offset1:210
	ds_read2_b64 v[2:5], v46 offset1:126
                                        ; implicit-def: $vgpr37
                                        ; implicit-def: $vgpr39
                                        ; implicit-def: $vgpr45
                                        ; implicit-def: $vgpr43
                                        ; implicit-def: $vgpr41
	s_and_saveexec_b64 s[2:3], vcc
	s_cbranch_execz .LBB0_23
; %bb.22:
	ds_read_b64 v[0:1], v46 offset:2016
	ds_read_b64 v[34:35], v46 offset:4176
	;; [unrolled: 1-line block ×7, first 2 shown]
.LBB0_23:
	s_or_b64 exec, exec, s[2:3]
	v_mov_b32_e32 v53, 19
	v_mul_lo_u16_sdwa v49, v30, v53 dst_sel:DWORD dst_unused:UNUSED_PAD src0_sel:BYTE_0 src1_sel:DWORD
	v_lshrrev_b16_e32 v65, 10, v49
	v_mul_lo_u16_e32 v49, 54, v65
	v_sub_u16_e32 v66, v30, v49
	v_mov_b32_e32 v54, 6
	v_mul_lo_u16_sdwa v53, v47, v53 dst_sel:DWORD dst_unused:UNUSED_PAD src0_sel:BYTE_0 src1_sel:DWORD
	v_mul_u32_u24_sdwa v49, v66, v54 dst_sel:DWORD dst_unused:UNUSED_PAD src0_sel:BYTE_0 src1_sel:DWORD
	v_lshrrev_b16_e32 v68, 10, v53
	v_lshlrev_b32_e32 v67, 3, v49
	v_mul_lo_u16_e32 v53, 54, v68
	global_load_dwordx4 v[49:52], v67, s[8:9] offset:416
	v_sub_u16_e32 v69, v47, v53
	v_mul_u32_u24_sdwa v53, v69, v54 dst_sel:DWORD dst_unused:UNUSED_PAD src0_sel:BYTE_0 src1_sel:DWORD
	v_lshlrev_b32_e32 v70, 3, v53
	global_load_dwordx4 v[53:56], v70, s[8:9] offset:416
	global_load_dwordx4 v[57:60], v67, s[8:9] offset:432
	;; [unrolled: 1-line block ×3, first 2 shown]
	s_mov_b32 s4, 0x3f5ff5aa
	s_mov_b32 s5, 0x3f3bfb3b
	;; [unrolled: 1-line block ×4, first 2 shown]
	s_waitcnt vmcnt(3) lgkmcnt(5)
	v_mul_f32_e32 v72, v52, v22
	v_mul_f32_e32 v67, v50, v27
	;; [unrolled: 1-line block ×4, first 2 shown]
	v_fmac_f32_e32 v72, v51, v23
	s_waitcnt vmcnt(2)
	v_mul_f32_e32 v23, v54, v29
	v_mul_f32_e32 v54, v54, v28
	v_fma_f32 v67, v49, v26, -v67
	v_fmac_f32_e32 v71, v49, v27
	v_fma_f32 v22, v51, v22, -v50
	global_load_dwordx4 v[49:52], v70, s[8:9] offset:432
	v_fma_f32 v23, v53, v28, -v23
	v_fmac_f32_e32 v54, v53, v29
	global_load_dwordx4 v[26:29], v70, s[8:9] offset:448
	v_mul_f32_e32 v53, v56, v25
	v_mul_f32_e32 v56, v56, v24
	v_fma_f32 v24, v55, v24, -v53
	v_fmac_f32_e32 v56, v55, v25
	s_waitcnt vmcnt(3) lgkmcnt(4)
	v_mul_f32_e32 v25, v58, v19
	v_mul_f32_e32 v53, v58, v18
	s_waitcnt lgkmcnt(3)
	v_mul_f32_e32 v55, v60, v15
	v_mul_f32_e32 v58, v60, v14
	s_waitcnt vmcnt(2) lgkmcnt(2)
	v_mul_f32_e32 v60, v62, v7
	v_mul_f32_e32 v62, v62, v6
	s_waitcnt lgkmcnt(1)
	v_mul_f32_e32 v70, v64, v11
	v_mul_f32_e32 v64, v64, v10
	v_fma_f32 v18, v57, v18, -v25
	v_fmac_f32_e32 v53, v57, v19
	v_fma_f32 v6, v61, v6, -v60
	v_fmac_f32_e32 v62, v61, v7
	;; [unrolled: 2-line block ×4, first 2 shown]
	s_waitcnt vmcnt(0) lgkmcnt(0)
	s_barrier
	v_mul_f32_e32 v19, v20, v50
	v_mul_f32_e32 v25, v17, v52
	;; [unrolled: 1-line block ×6, first 2 shown]
	v_fmac_f32_e32 v19, v21, v49
	v_fma_f32 v21, v16, v51, -v25
	v_fma_f32 v25, v8, v26, -v10
	v_fmac_f32_e32 v27, v9, v26
	v_fma_f32 v26, v12, v28, -v11
	v_add_f32_e32 v8, v67, v7
	v_add_f32_e32 v11, v22, v6
	v_mul_f32_e32 v29, v12, v29
	v_fma_f32 v20, v20, v49, -v15
	v_add_f32_e32 v9, v71, v64
	v_add_f32_e32 v12, v72, v62
	v_add_f32_e32 v15, v18, v14
	v_sub_f32_e32 v14, v14, v18
	v_add_f32_e32 v18, v11, v8
	v_mul_f32_e32 v50, v16, v52
	v_fmac_f32_e32 v29, v13, v28
	v_sub_f32_e32 v6, v22, v6
	v_add_f32_e32 v16, v53, v58
	v_add_f32_e32 v22, v12, v9
	v_sub_f32_e32 v28, v11, v8
	v_sub_f32_e32 v8, v8, v15
	;; [unrolled: 1-line block ×3, first 2 shown]
	v_add_f32_e32 v15, v15, v18
	v_fmac_f32_e32 v50, v17, v51
	v_sub_f32_e32 v7, v67, v7
	v_sub_f32_e32 v10, v71, v64
	;; [unrolled: 1-line block ×7, first 2 shown]
	v_add_f32_e32 v16, v16, v22
	v_add_f32_e32 v2, v15, v2
	;; [unrolled: 1-line block ×4, first 2 shown]
	v_sub_f32_e32 v53, v14, v6
	v_sub_f32_e32 v55, v17, v13
	;; [unrolled: 1-line block ×4, first 2 shown]
	v_add_f32_e32 v3, v16, v3
	v_mov_b32_e32 v57, v2
	v_sub_f32_e32 v14, v7, v14
	v_sub_f32_e32 v17, v10, v17
	v_add_f32_e32 v7, v51, v7
	v_add_f32_e32 v10, v52, v10
	v_mul_f32_e32 v8, 0x3f4a47b2, v8
	v_mul_f32_e32 v9, 0x3f4a47b2, v9
	;; [unrolled: 1-line block ×8, first 2 shown]
	v_fmac_f32_e32 v57, 0xbf955555, v15
	v_mov_b32_e32 v15, v3
	v_fmac_f32_e32 v15, 0xbf955555, v16
	v_fma_f32 v16, v28, s5, -v18
	v_fma_f32 v18, v49, s5, -v22
	;; [unrolled: 1-line block ×3, first 2 shown]
	v_fmac_f32_e32 v8, 0x3d64c772, v11
	v_fma_f32 v11, v49, s6, -v9
	v_fmac_f32_e32 v9, 0x3d64c772, v12
	v_fma_f32 v28, v6, s4, -v51
	;; [unrolled: 2-line block ×3, first 2 shown]
	v_fma_f32 v49, v14, s7, -v53
	v_fma_f32 v14, v17, s7, -v55
	v_fmac_f32_e32 v52, 0x3eae86e6, v17
	v_add_f32_e32 v13, v16, v57
	v_add_f32_e32 v16, v18, v15
	;; [unrolled: 1-line block ×3, first 2 shown]
	v_fmac_f32_e32 v28, 0x3ee1c552, v7
	v_fmac_f32_e32 v12, 0x3ee1c552, v10
	;; [unrolled: 1-line block ×3, first 2 shown]
	v_add_f32_e32 v17, v8, v57
	v_add_f32_e32 v53, v9, v15
	v_add_f32_e32 v15, v11, v15
	v_fmac_f32_e32 v52, 0x3ee1c552, v10
	v_add_f32_e32 v8, v14, v18
	v_sub_f32_e32 v10, v13, v12
	v_add_f32_e32 v11, v28, v16
	v_add_f32_e32 v12, v12, v13
	v_sub_f32_e32 v13, v16, v28
	v_sub_f32_e32 v14, v18, v14
	v_add_f32_e32 v18, v23, v26
	v_add_f32_e32 v28, v24, v25
	v_fmac_f32_e32 v49, 0x3ee1c552, v7
	v_add_f32_e32 v22, v54, v29
	v_sub_f32_e32 v23, v23, v26
	v_sub_f32_e32 v26, v54, v29
	v_add_f32_e32 v29, v56, v27
	v_sub_f32_e32 v24, v24, v25
	v_sub_f32_e32 v25, v56, v27
	v_add_f32_e32 v27, v20, v21
	v_sub_f32_e32 v20, v21, v20
	v_add_f32_e32 v21, v28, v18
	v_fmac_f32_e32 v51, 0x3ee1c552, v7
	v_sub_f32_e32 v9, v15, v49
	v_add_f32_e32 v15, v49, v15
	v_add_f32_e32 v49, v19, v50
	v_sub_f32_e32 v19, v50, v19
	v_add_f32_e32 v50, v29, v22
	v_add_f32_e32 v21, v27, v21
	;; [unrolled: 1-line block ×3, first 2 shown]
	v_sub_f32_e32 v7, v53, v51
	v_sub_f32_e32 v16, v17, v52
	v_add_f32_e32 v17, v51, v53
	v_sub_f32_e32 v51, v28, v18
	v_sub_f32_e32 v18, v18, v27
	;; [unrolled: 1-line block ×3, first 2 shown]
	v_add_f32_e32 v27, v49, v50
	v_add_f32_e32 v4, v21, v4
	v_sub_f32_e32 v52, v29, v22
	v_sub_f32_e32 v22, v22, v49
	;; [unrolled: 1-line block ×3, first 2 shown]
	v_add_f32_e32 v54, v19, v25
	v_sub_f32_e32 v56, v19, v25
	v_sub_f32_e32 v25, v25, v26
	v_add_f32_e32 v5, v27, v5
	v_mov_b32_e32 v57, v4
	v_add_f32_e32 v53, v20, v24
	v_sub_f32_e32 v55, v20, v24
	v_sub_f32_e32 v19, v26, v19
	v_add_f32_e32 v26, v54, v26
	v_mul_f32_e32 v18, 0x3f4a47b2, v18
	v_mul_f32_e32 v22, 0x3f4a47b2, v22
	;; [unrolled: 1-line block ×6, first 2 shown]
	v_fmac_f32_e32 v57, 0xbf955555, v21
	v_mov_b32_e32 v21, v5
	v_sub_f32_e32 v20, v23, v20
	v_sub_f32_e32 v24, v24, v23
	v_add_f32_e32 v23, v53, v23
	v_mul_f32_e32 v53, 0xbf08b237, v55
	v_fmac_f32_e32 v21, 0xbf955555, v27
	v_fma_f32 v27, v51, s5, -v49
	v_fma_f32 v49, v52, s5, -v50
	;; [unrolled: 1-line block ×3, first 2 shown]
	v_fmac_f32_e32 v18, 0x3d64c772, v28
	v_fma_f32 v28, v52, s6, -v22
	v_fma_f32 v52, v19, s7, -v56
	v_mul_f32_e32 v55, 0x3f5ff5aa, v24
	v_fmac_f32_e32 v22, 0x3d64c772, v29
	v_fma_f32 v29, v24, s4, -v53
	v_fma_f32 v24, v25, s4, -v54
	v_fmac_f32_e32 v54, 0x3eae86e6, v19
	v_add_f32_e32 v25, v27, v57
	v_add_f32_e32 v27, v49, v21
	;; [unrolled: 1-line block ×3, first 2 shown]
	v_fmac_f32_e32 v52, 0x3ee1c552, v26
	v_fmac_f32_e32 v53, 0x3eae86e6, v20
	v_fma_f32 v51, v20, s7, -v55
	v_fmac_f32_e32 v54, 0x3ee1c552, v26
	v_fmac_f32_e32 v24, 0x3ee1c552, v26
	v_add_f32_e32 v20, v52, v49
	v_sub_f32_e32 v26, v49, v52
	v_mul_u32_u24_e32 v49, 0xbd0, v65
	v_lshlrev_b32_sdwa v50, v48, v66 dst_sel:DWORD dst_unused:UNUSED_PAD src0_sel:DWORD src1_sel:BYTE_0
	v_add3_u32 v49, 0, v49, v50
	ds_write2_b64 v49, v[2:3], v[6:7] offset1:54
	ds_write2_b64 v49, v[8:9], v[10:11] offset0:108 offset1:162
	v_add_u32_e32 v2, 0x400, v49
	ds_write2_b64 v2, v[12:13], v[14:15] offset0:88 offset1:142
	ds_write_b64 v49, v[16:17] offset:2592
	v_mul_u32_u24_e32 v2, 0xbd0, v68
	v_lshlrev_b32_sdwa v3, v48, v69 dst_sel:DWORD dst_unused:UNUSED_PAD src0_sel:DWORD src1_sel:BYTE_0
	v_add_f32_e32 v55, v18, v57
	v_add_f32_e32 v56, v22, v21
	;; [unrolled: 1-line block ×3, first 2 shown]
	v_fmac_f32_e32 v53, 0x3ee1c552, v23
	v_fmac_f32_e32 v29, 0x3ee1c552, v23
	;; [unrolled: 1-line block ×3, first 2 shown]
	v_add3_u32 v2, 0, v2, v3
	v_add_f32_e32 v18, v54, v55
	v_sub_f32_e32 v19, v56, v53
	v_sub_f32_e32 v22, v25, v24
	v_add_f32_e32 v23, v29, v27
	v_add_f32_e32 v24, v24, v25
	v_sub_f32_e32 v25, v27, v29
	v_add_f32_e32 v27, v51, v28
	v_add_u32_e32 v3, 0x400, v2
	v_sub_f32_e32 v21, v28, v51
	v_sub_f32_e32 v28, v55, v54
	v_add_f32_e32 v29, v53, v56
	ds_write2_b64 v2, v[4:5], v[18:19] offset1:54
	ds_write2_b64 v2, v[20:21], v[22:23] offset0:108 offset1:162
	ds_write2_b64 v3, v[24:25], v[26:27] offset0:88 offset1:142
	ds_write_b64 v2, v[28:29] offset:2592
	s_and_saveexec_b64 s[2:3], vcc
	s_cbranch_execz .LBB0_25
; %bb.24:
	v_lshrrev_b16_e32 v2, 1, v31
	v_mul_u32_u24_e32 v2, 0x97b5, v2
	v_lshrrev_b32_e32 v2, 20, v2
	v_mul_lo_u16_e32 v2, 54, v2
	v_sub_u16_e32 v14, v31, v2
	v_mul_u32_u24_e32 v2, 6, v14
	v_lshlrev_b32_e32 v15, 3, v2
	global_load_dwordx4 v[2:5], v15, s[8:9] offset:416
	global_load_dwordx4 v[6:9], v15, s[8:9] offset:448
	;; [unrolled: 1-line block ×3, first 2 shown]
	v_lshl_add_u32 v14, v14, 3, 0
	s_waitcnt vmcnt(2)
	v_mul_f32_e32 v15, v35, v3
	s_waitcnt vmcnt(1)
	v_mul_f32_e32 v16, v45, v9
	;; [unrolled: 2-line block ×3, first 2 shown]
	v_mul_f32_e32 v18, v41, v11
	v_mul_f32_e32 v19, v37, v5
	;; [unrolled: 1-line block ×9, first 2 shown]
	v_fma_f32 v15, v34, v2, -v15
	v_fma_f32 v16, v44, v8, -v16
	;; [unrolled: 1-line block ×6, first 2 shown]
	v_fmac_f32_e32 v9, v45, v8
	v_fmac_f32_e32 v3, v35, v2
	;; [unrolled: 1-line block ×6, first 2 shown]
	v_sub_f32_e32 v2, v15, v16
	v_sub_f32_e32 v4, v17, v18
	;; [unrolled: 1-line block ×3, first 2 shown]
	v_add_f32_e32 v8, v3, v9
	v_add_f32_e32 v10, v11, v13
	v_add_f32_e32 v12, v5, v7
	v_add_f32_e32 v15, v15, v16
	v_add_f32_e32 v16, v18, v17
	v_add_f32_e32 v17, v19, v20
	v_sub_f32_e32 v9, v3, v9
	v_sub_f32_e32 v3, v13, v11
	;; [unrolled: 1-line block ×5, first 2 shown]
	v_add_f32_e32 v4, v4, v6
	v_sub_f32_e32 v13, v8, v10
	v_add_f32_e32 v19, v12, v8
	v_sub_f32_e32 v20, v15, v16
	;; [unrolled: 2-line block ×3, first 2 shown]
	v_sub_f32_e32 v21, v16, v17
	v_sub_f32_e32 v24, v3, v7
	;; [unrolled: 1-line block ×5, first 2 shown]
	v_add_f32_e32 v15, v4, v2
	v_mul_f32_e32 v2, 0x3f4a47b2, v13
	v_add_f32_e32 v4, v10, v19
	v_mul_f32_e32 v10, 0x3f4a47b2, v20
	;; [unrolled: 2-line block ×3, first 2 shown]
	v_mov_b32_e32 v24, v2
	v_add_f32_e32 v1, v1, v4
	v_mov_b32_e32 v25, v10
	v_add_f32_e32 v0, v0, v16
	v_sub_f32_e32 v23, v9, v3
	v_add_f32_e32 v3, v3, v7
	v_mul_f32_e32 v11, 0xbf08b237, v11
	v_mul_f32_e32 v13, 0x3d64c772, v18
	;; [unrolled: 1-line block ×3, first 2 shown]
	v_fmac_f32_e32 v24, 0x3d64c772, v18
	v_mov_b32_e32 v18, v1
	v_fmac_f32_e32 v25, 0x3d64c772, v21
	v_mov_b32_e32 v21, v0
	v_add_f32_e32 v20, v3, v9
	v_mov_b32_e32 v22, v11
	v_mov_b32_e32 v26, v19
	v_fmac_f32_e32 v18, 0xbf955555, v4
	v_fmac_f32_e32 v21, 0xbf955555, v16
	v_fma_f32 v4, v12, s6, -v10
	v_sub_f32_e32 v9, v7, v9
	v_mul_f32_e32 v3, 0x3f5ff5aa, v6
	v_fmac_f32_e32 v22, 0x3eae86e6, v5
	v_fmac_f32_e32 v26, 0x3eae86e6, v23
	v_add_f32_e32 v10, v4, v21
	v_mul_f32_e32 v4, 0x3f5ff5aa, v9
	v_fma_f32 v7, v8, s5, -v13
	v_fma_f32 v11, v6, s4, -v11
	;; [unrolled: 1-line block ×6, first 2 shown]
	v_fmac_f32_e32 v22, 0x3ee1c552, v15
	v_fmac_f32_e32 v26, 0x3ee1c552, v20
	v_add_f32_e32 v16, v24, v18
	v_add_f32_e32 v24, v25, v21
	v_fma_f32 v23, v23, s7, -v4
	v_add_f32_e32 v8, v7, v18
	v_fmac_f32_e32 v11, 0x3ee1c552, v15
	v_fmac_f32_e32 v13, 0x3ee1c552, v20
	v_add_f32_e32 v12, v6, v21
	v_fmac_f32_e32 v27, 0x3ee1c552, v15
	v_add_f32_e32 v25, v2, v18
	v_fmac_f32_e32 v23, 0x3ee1c552, v20
	v_sub_f32_e32 v7, v8, v11
	v_add_f32_e32 v6, v13, v12
	v_add_f32_e32 v9, v11, v8
	v_sub_f32_e32 v8, v12, v13
	v_sub_f32_e32 v13, v16, v22
	v_add_f32_e32 v12, v26, v24
	v_add_u32_e32 v15, 0x2c00, v14
	v_sub_f32_e32 v4, v10, v23
	v_sub_f32_e32 v11, v25, v27
	v_add_f32_e32 v10, v23, v10
	ds_write2_b64 v15, v[0:1], v[12:13] offset0:104 offset1:158
	v_add_u32_e32 v0, 0x3000, v14
	v_add_f32_e32 v3, v22, v16
	v_sub_f32_e32 v2, v24, v26
	v_add_f32_e32 v5, v27, v25
	ds_write2_b64 v0, v[10:11], v[8:9] offset0:84 offset1:138
	ds_write2_b64 v0, v[6:7], v[4:5] offset0:192 offset1:246
	ds_write_b64 v14, v[2:3] offset:14688
.LBB0_25:
	s_or_b64 exec, exec, s[2:3]
	v_lshlrev_b32_e32 v0, 2, v30
	v_mov_b32_e32 v1, 0
	v_lshlrev_b64 v[2:3], 3, v[0:1]
	v_mov_b32_e32 v20, s9
	v_add_co_u32_e32 v10, vcc, s8, v2
	v_addc_co_u32_e32 v11, vcc, v20, v3, vcc
	v_lshlrev_b32_e32 v0, 2, v47
	s_waitcnt lgkmcnt(0)
	s_barrier
	global_load_dwordx4 v[2:5], v[10:11], off offset:3008
	global_load_dwordx4 v[6:9], v[10:11], off offset:3024
	v_lshlrev_b64 v[10:11], 3, v[0:1]
	v_lshlrev_b32_e32 v0, 2, v31
	v_add_co_u32_e32 v18, vcc, s8, v10
	v_addc_co_u32_e32 v19, vcc, v20, v11, vcc
	global_load_dwordx4 v[10:13], v[18:19], off offset:3008
	global_load_dwordx4 v[14:17], v[18:19], off offset:3024
	v_lshlrev_b64 v[18:19], 3, v[0:1]
	v_add_u32_e32 v0, 0x400, v46
	v_add_co_u32_e32 v26, vcc, s8, v18
	v_addc_co_u32_e32 v27, vcc, v20, v19, vcc
	global_load_dwordx4 v[18:21], v[26:27], off offset:3008
	global_load_dwordx4 v[22:25], v[26:27], off offset:3024
	v_add_u32_e32 v42, 0x2000, v46
	v_add_u32_e32 v47, 0x2800, v46
	;; [unrolled: 1-line block ×4, first 2 shown]
	ds_read2_b64 v[26:29], v46 offset1:126
	v_add_u32_e32 v31, 0x1000, v46
	v_add_u32_e32 v61, 0xc00, v46
	ds_read2_b64 v[34:37], v0 offset0:124 offset1:250
	ds_read2_b64 v[38:41], v31 offset0:118 offset1:244
	;; [unrolled: 1-line block ×4, first 2 shown]
	ds_read2_b32 v[59:60], v61 offset0:240 offset1:241
	ds_read2_b64 v[51:54], v51 offset0:114 offset1:240
	ds_read2_b64 v[55:58], v55 offset0:102 offset1:228
	s_waitcnt vmcnt(0) lgkmcnt(0)
	s_barrier
	v_mul_f32_e32 v31, v3, v37
	v_mul_f32_e32 v62, v3, v36
	;; [unrolled: 1-line block ×8, first 2 shown]
	v_fma_f32 v9, v2, v36, -v31
	v_fma_f32 v31, v4, v40, -v3
	v_mul_f32_e32 v3, v52, v13
	v_fmac_f32_e32 v62, v2, v37
	v_fmac_f32_e32 v63, v4, v41
	v_fma_f32 v36, v6, v42, -v5
	v_fmac_f32_e32 v64, v6, v43
	v_fma_f32 v7, v8, v49, -v7
	v_mul_f32_e32 v2, v60, v11
	v_mul_f32_e32 v4, v45, v15
	v_fma_f32 v43, v51, v12, -v3
	v_mul_f32_e32 v49, v38, v19
	v_mul_f32_e32 v3, v54, v21
	;; [unrolled: 1-line block ×5, first 2 shown]
	v_fma_f32 v17, v10, v59, -v2
	v_fma_f32 v44, v44, v14, -v4
	v_mul_f32_e32 v2, v39, v19
	v_mul_f32_e32 v4, v48, v23
	v_fmac_f32_e32 v49, v39, v18
	v_fma_f32 v39, v53, v20, -v3
	v_add_f32_e32 v3, v31, v36
	v_fmac_f32_e32 v65, v8, v50
	v_mul_f32_e32 v40, v51, v13
	v_mul_f32_e32 v51, v47, v23
	v_fma_f32 v47, v47, v22, -v4
	v_fma_f32 v4, -0.5, v3, v26
	v_mul_f32_e32 v37, v11, v59
	v_sub_f32_e32 v3, v62, v65
	v_mov_b32_e32 v6, v4
	v_fmac_f32_e32 v37, v60, v10
	v_fmac_f32_e32 v41, v45, v14
	v_fma_f32 v45, v55, v16, -v5
	v_fmac_f32_e32 v6, 0x3f737871, v3
	v_sub_f32_e32 v5, v63, v64
	v_sub_f32_e32 v8, v9, v31
	;; [unrolled: 1-line block ×3, first 2 shown]
	v_fmac_f32_e32 v4, 0xbf737871, v3
	v_fmac_f32_e32 v6, 0x3f167918, v5
	v_add_f32_e32 v8, v8, v10
	v_fmac_f32_e32 v4, 0xbf167918, v5
	v_fmac_f32_e32 v6, 0x3e9e377a, v8
	;; [unrolled: 1-line block ×3, first 2 shown]
	v_add_f32_e32 v8, v9, v7
	v_fma_f32 v38, v38, v18, -v2
	v_mul_f32_e32 v2, v58, v25
	v_fma_f32 v8, -0.5, v8, v26
	v_fmac_f32_e32 v51, v48, v22
	v_fma_f32 v48, v57, v24, -v2
	v_add_f32_e32 v2, v26, v9
	v_mov_b32_e32 v10, v8
	v_add_f32_e32 v2, v2, v31
	v_fmac_f32_e32 v10, 0xbf737871, v5
	v_fmac_f32_e32 v8, 0x3f737871, v5
	v_add_f32_e32 v5, v63, v64
	v_fmac_f32_e32 v40, v52, v12
	v_add_f32_e32 v2, v2, v36
	v_sub_f32_e32 v11, v31, v9
	v_sub_f32_e32 v12, v36, v7
	v_fma_f32 v5, -0.5, v5, v27
	v_add_f32_e32 v2, v2, v7
	v_fmac_f32_e32 v10, 0x3f167918, v3
	v_add_f32_e32 v11, v11, v12
	v_fmac_f32_e32 v8, 0xbf167918, v3
	v_sub_f32_e32 v12, v9, v7
	v_mov_b32_e32 v7, v5
	v_fmac_f32_e32 v10, 0x3e9e377a, v11
	v_fmac_f32_e32 v8, 0x3e9e377a, v11
	;; [unrolled: 1-line block ×3, first 2 shown]
	v_sub_f32_e32 v13, v31, v36
	v_sub_f32_e32 v9, v62, v63
	;; [unrolled: 1-line block ×3, first 2 shown]
	v_fmac_f32_e32 v5, 0x3f737871, v12
	v_fmac_f32_e32 v7, 0xbf167918, v13
	v_add_f32_e32 v9, v9, v11
	v_fmac_f32_e32 v5, 0x3f167918, v13
	v_fmac_f32_e32 v7, 0x3e9e377a, v9
	;; [unrolled: 1-line block ×3, first 2 shown]
	v_add_f32_e32 v9, v62, v65
	v_fma_f32 v9, -0.5, v9, v27
	v_mov_b32_e32 v11, v9
	v_fmac_f32_e32 v11, 0x3f737871, v13
	v_sub_f32_e32 v14, v63, v62
	v_sub_f32_e32 v15, v64, v65
	v_fmac_f32_e32 v9, 0xbf737871, v13
	v_fmac_f32_e32 v11, 0xbf167918, v12
	v_add_f32_e32 v14, v14, v15
	v_fmac_f32_e32 v9, 0x3f167918, v12
	v_add_f32_e32 v13, v43, v44
	v_fmac_f32_e32 v42, v56, v16
	v_fmac_f32_e32 v11, 0x3e9e377a, v14
	;; [unrolled: 1-line block ×3, first 2 shown]
	v_fma_f32 v14, -0.5, v13, v28
	v_sub_f32_e32 v13, v37, v42
	v_mov_b32_e32 v16, v14
	v_fmac_f32_e32 v16, 0x3f737871, v13
	v_sub_f32_e32 v15, v40, v41
	v_sub_f32_e32 v18, v17, v43
	;; [unrolled: 1-line block ×3, first 2 shown]
	v_fmac_f32_e32 v14, 0xbf737871, v13
	v_fmac_f32_e32 v16, 0x3f167918, v15
	v_add_f32_e32 v18, v18, v19
	v_fmac_f32_e32 v14, 0xbf167918, v15
	v_fmac_f32_e32 v16, 0x3e9e377a, v18
	;; [unrolled: 1-line block ×3, first 2 shown]
	v_add_f32_e32 v18, v17, v45
	v_add_f32_e32 v12, v28, v17
	v_fma_f32 v28, -0.5, v18, v28
	v_mov_b32_e32 v18, v28
	v_mul_f32_e32 v50, v53, v21
	v_fmac_f32_e32 v18, 0xbf737871, v15
	v_fmac_f32_e32 v28, 0x3f737871, v15
	v_add_f32_e32 v15, v40, v41
	v_fmac_f32_e32 v50, v54, v20
	v_sub_f32_e32 v19, v43, v17
	v_sub_f32_e32 v20, v44, v45
	v_fma_f32 v15, -0.5, v15, v29
	v_fmac_f32_e32 v18, 0x3f167918, v13
	v_add_f32_e32 v19, v19, v20
	v_fmac_f32_e32 v28, 0xbf167918, v13
	v_sub_f32_e32 v20, v17, v45
	v_mov_b32_e32 v17, v15
	v_fmac_f32_e32 v18, 0x3e9e377a, v19
	v_fmac_f32_e32 v28, 0x3e9e377a, v19
	;; [unrolled: 1-line block ×3, first 2 shown]
	v_sub_f32_e32 v21, v43, v44
	v_sub_f32_e32 v19, v37, v40
	;; [unrolled: 1-line block ×3, first 2 shown]
	v_fmac_f32_e32 v15, 0x3f737871, v20
	v_fmac_f32_e32 v17, 0xbf167918, v21
	v_add_f32_e32 v19, v19, v22
	v_fmac_f32_e32 v15, 0x3f167918, v21
	v_fmac_f32_e32 v17, 0x3e9e377a, v19
	;; [unrolled: 1-line block ×3, first 2 shown]
	v_add_f32_e32 v19, v37, v42
	v_add_f32_e32 v13, v29, v37
	v_fmac_f32_e32 v29, -0.5, v19
	v_mov_b32_e32 v19, v29
	v_fmac_f32_e32 v19, 0x3f737871, v21
	v_sub_f32_e32 v22, v40, v37
	v_sub_f32_e32 v23, v41, v42
	v_fmac_f32_e32 v29, 0xbf737871, v21
	v_mul_f32_e32 v52, v57, v25
	v_fmac_f32_e32 v19, 0xbf167918, v20
	v_add_f32_e32 v22, v22, v23
	v_fmac_f32_e32 v29, 0x3f167918, v20
	v_add_f32_e32 v21, v39, v47
	v_fmac_f32_e32 v52, v58, v24
	v_fmac_f32_e32 v19, 0x3e9e377a, v22
	v_fmac_f32_e32 v29, 0x3e9e377a, v22
	v_fma_f32 v22, -0.5, v21, v34
	v_sub_f32_e32 v21, v49, v52
	v_mov_b32_e32 v24, v22
	v_fmac_f32_e32 v24, 0x3f737871, v21
	v_sub_f32_e32 v23, v50, v51
	v_sub_f32_e32 v25, v38, v39
	;; [unrolled: 1-line block ×3, first 2 shown]
	v_fmac_f32_e32 v22, 0xbf737871, v21
	v_fmac_f32_e32 v24, 0x3f167918, v23
	v_add_f32_e32 v25, v25, v26
	v_fmac_f32_e32 v22, 0xbf167918, v23
	v_fmac_f32_e32 v24, 0x3e9e377a, v25
	v_fmac_f32_e32 v22, 0x3e9e377a, v25
	v_add_f32_e32 v25, v38, v48
	v_add_f32_e32 v20, v34, v38
	v_fma_f32 v34, -0.5, v25, v34
	v_mov_b32_e32 v26, v34
	v_add_f32_e32 v3, v27, v62
	v_fmac_f32_e32 v26, 0xbf737871, v23
	v_sub_f32_e32 v25, v39, v38
	v_sub_f32_e32 v27, v47, v48
	v_fmac_f32_e32 v34, 0x3f737871, v23
	v_add_f32_e32 v23, v50, v51
	v_fmac_f32_e32 v26, 0x3f167918, v21
	v_add_f32_e32 v25, v25, v27
	v_fmac_f32_e32 v34, 0xbf167918, v21
	v_fma_f32 v23, -0.5, v23, v35
	v_fmac_f32_e32 v26, 0x3e9e377a, v25
	v_fmac_f32_e32 v34, 0x3e9e377a, v25
	v_sub_f32_e32 v31, v38, v48
	v_mov_b32_e32 v25, v23
	v_fmac_f32_e32 v25, 0xbf737871, v31
	v_sub_f32_e32 v36, v39, v47
	v_sub_f32_e32 v27, v49, v50
	;; [unrolled: 1-line block ×3, first 2 shown]
	v_fmac_f32_e32 v23, 0x3f737871, v31
	v_fmac_f32_e32 v25, 0xbf167918, v36
	v_add_f32_e32 v27, v27, v37
	v_fmac_f32_e32 v23, 0x3f167918, v36
	v_add_f32_e32 v3, v3, v63
	v_add_f32_e32 v12, v12, v43
	;; [unrolled: 1-line block ×3, first 2 shown]
	v_fmac_f32_e32 v25, 0x3e9e377a, v27
	v_fmac_f32_e32 v23, 0x3e9e377a, v27
	v_add_f32_e32 v27, v49, v52
	v_add_f32_e32 v3, v3, v64
	;; [unrolled: 1-line block ×5, first 2 shown]
	v_fmac_f32_e32 v35, -0.5, v27
	v_add_f32_e32 v3, v3, v65
	v_add_f32_e32 v12, v12, v45
	;; [unrolled: 1-line block ×3, first 2 shown]
	v_mov_b32_e32 v27, v35
	v_add_f32_e32 v20, v20, v39
	v_add_f32_e32 v21, v21, v50
	v_fmac_f32_e32 v27, 0x3f737871, v36
	v_sub_f32_e32 v37, v50, v49
	v_sub_f32_e32 v38, v51, v52
	ds_write2_b64 v46, v[2:3], v[12:13] offset1:126
	v_add_u32_e32 v2, 0x1400, v46
	v_add_f32_e32 v20, v20, v47
	v_add_f32_e32 v21, v21, v51
	v_fmac_f32_e32 v27, 0xbf167918, v31
	v_add_f32_e32 v37, v37, v38
	v_fmac_f32_e32 v35, 0xbf737871, v36
	ds_write2_b64 v2, v[10:11], v[18:19] offset0:116 offset1:242
	v_add_u32_e32 v2, 0x2c00, v46
	v_add_f32_e32 v20, v20, v48
	v_add_f32_e32 v21, v21, v52
	v_fmac_f32_e32 v27, 0x3e9e377a, v37
	v_fmac_f32_e32 v35, 0x3f167918, v31
	ds_write2_b64 v2, v[4:5], v[14:15] offset0:104 offset1:230
	ds_write2_b64 v0, v[20:21], v[6:7] offset0:124 offset1:250
	;; [unrolled: 1-line block ×3, first 2 shown]
	v_add_u32_e32 v0, 0x1c00, v46
	v_fmac_f32_e32 v35, 0x3e9e377a, v37
	ds_write2_b64 v0, v[26:27], v[8:9] offset0:112 offset1:238
	v_add_u32_e32 v0, 0x2400, v46
	ds_write2_b64 v0, v[28:29], v[34:35] offset0:108 offset1:234
	ds_write_b64 v46, v[22:23] offset:14112
	s_waitcnt lgkmcnt(0)
	s_barrier
	s_and_saveexec_b64 s[2:3], s[0:1]
	s_cbranch_execz .LBB0_27
; %bb.26:
	v_lshl_add_u32 v8, v30, 3, 0
	v_mov_b32_e32 v31, v1
	ds_read2_b64 v[2:5], v8 offset1:126
	v_mov_b32_e32 v0, s13
	v_add_co_u32_e32 v9, vcc, s12, v32
	v_lshlrev_b64 v[6:7], 3, v[30:31]
	v_addc_co_u32_e32 v10, vcc, v0, v33, vcc
	v_add_co_u32_e32 v6, vcc, v9, v6
	v_addc_co_u32_e32 v7, vcc, v10, v7, vcc
	v_add_u32_e32 v0, 0x7e, v30
	s_waitcnt lgkmcnt(0)
	global_store_dwordx2 v[6:7], v[2:3], off
	v_lshlrev_b64 v[2:3], 3, v[0:1]
	v_add_u32_e32 v0, 0xfc, v30
	v_add_co_u32_e32 v2, vcc, v9, v2
	v_addc_co_u32_e32 v3, vcc, v10, v3, vcc
	global_store_dwordx2 v[2:3], v[4:5], off
	v_add_u32_e32 v2, 0x400, v8
	ds_read2_b64 v[2:5], v2 offset0:124 offset1:250
	v_lshlrev_b64 v[6:7], 3, v[0:1]
	v_add_u32_e32 v0, 0x17a, v30
	v_add_co_u32_e32 v6, vcc, v9, v6
	v_addc_co_u32_e32 v7, vcc, v10, v7, vcc
	s_waitcnt lgkmcnt(0)
	global_store_dwordx2 v[6:7], v[2:3], off
	v_lshlrev_b64 v[2:3], 3, v[0:1]
	v_add_u32_e32 v0, 0x1f8, v30
	v_add_co_u32_e32 v2, vcc, v9, v2
	v_addc_co_u32_e32 v3, vcc, v10, v3, vcc
	global_store_dwordx2 v[2:3], v[4:5], off
	v_add_u32_e32 v2, 0xc00, v8
	ds_read2_b64 v[2:5], v2 offset0:120 offset1:246
	v_lshlrev_b64 v[6:7], 3, v[0:1]
	v_add_u32_e32 v0, 0x276, v30
	v_add_co_u32_e32 v6, vcc, v9, v6
	v_addc_co_u32_e32 v7, vcc, v10, v7, vcc
	s_waitcnt lgkmcnt(0)
	global_store_dwordx2 v[6:7], v[2:3], off
	v_lshlrev_b64 v[2:3], 3, v[0:1]
	v_add_u32_e32 v0, 0x2f4, v30
	v_add_co_u32_e32 v2, vcc, v9, v2
	v_addc_co_u32_e32 v3, vcc, v10, v3, vcc
	global_store_dwordx2 v[2:3], v[4:5], off
	v_add_u32_e32 v2, 0x1400, v8
	ds_read2_b64 v[2:5], v2 offset0:116 offset1:242
	v_lshlrev_b64 v[6:7], 3, v[0:1]
	v_add_u32_e32 v0, 0x372, v30
	v_add_co_u32_e32 v6, vcc, v9, v6
	v_addc_co_u32_e32 v7, vcc, v10, v7, vcc
	s_waitcnt lgkmcnt(0)
	global_store_dwordx2 v[6:7], v[2:3], off
	v_lshlrev_b64 v[2:3], 3, v[0:1]
	v_add_u32_e32 v0, 0x3f0, v30
	v_add_co_u32_e32 v2, vcc, v9, v2
	v_addc_co_u32_e32 v3, vcc, v10, v3, vcc
	global_store_dwordx2 v[2:3], v[4:5], off
	v_add_u32_e32 v2, 0x1c00, v8
	ds_read2_b64 v[2:5], v2 offset0:112 offset1:238
	v_lshlrev_b64 v[6:7], 3, v[0:1]
	v_add_u32_e32 v0, 0x46e, v30
	v_add_co_u32_e32 v6, vcc, v9, v6
	v_addc_co_u32_e32 v7, vcc, v10, v7, vcc
	s_waitcnt lgkmcnt(0)
	global_store_dwordx2 v[6:7], v[2:3], off
	v_lshlrev_b64 v[2:3], 3, v[0:1]
	v_add_u32_e32 v0, 0x4ec, v30
	v_add_co_u32_e32 v2, vcc, v9, v2
	v_addc_co_u32_e32 v3, vcc, v10, v3, vcc
	global_store_dwordx2 v[2:3], v[4:5], off
	v_add_u32_e32 v2, 0x2400, v8
	ds_read2_b64 v[2:5], v2 offset0:108 offset1:234
	v_lshlrev_b64 v[6:7], 3, v[0:1]
	v_add_u32_e32 v0, 0x56a, v30
	v_add_co_u32_e32 v6, vcc, v9, v6
	v_addc_co_u32_e32 v7, vcc, v10, v7, vcc
	s_waitcnt lgkmcnt(0)
	global_store_dwordx2 v[6:7], v[2:3], off
	v_lshlrev_b64 v[2:3], 3, v[0:1]
	v_add_u32_e32 v0, 0x5e8, v30
	v_add_co_u32_e32 v2, vcc, v9, v2
	v_addc_co_u32_e32 v3, vcc, v10, v3, vcc
	global_store_dwordx2 v[2:3], v[4:5], off
	v_add_u32_e32 v2, 0x2c00, v8
	ds_read2_b64 v[2:5], v2 offset0:104 offset1:230
	v_lshlrev_b64 v[6:7], 3, v[0:1]
	v_add_u32_e32 v0, 0x666, v30
	v_add_co_u32_e32 v6, vcc, v9, v6
	v_addc_co_u32_e32 v7, vcc, v10, v7, vcc
	s_waitcnt lgkmcnt(0)
	global_store_dwordx2 v[6:7], v[2:3], off
	v_lshlrev_b64 v[2:3], 3, v[0:1]
	v_add_u32_e32 v0, 0x6e4, v30
	v_add_co_u32_e32 v2, vcc, v9, v2
	v_addc_co_u32_e32 v3, vcc, v10, v3, vcc
	global_store_dwordx2 v[2:3], v[4:5], off
	ds_read_b64 v[2:3], v8 offset:14112
	v_lshlrev_b64 v[0:1], 3, v[0:1]
	v_add_co_u32_e32 v0, vcc, v9, v0
	v_addc_co_u32_e32 v1, vcc, v10, v1, vcc
	s_waitcnt lgkmcnt(0)
	global_store_dwordx2 v[0:1], v[2:3], off
.LBB0_27:
	s_endpgm
	.section	.rodata,"a",@progbits
	.p2align	6, 0x0
	.amdhsa_kernel fft_rtc_fwd_len1890_factors_2_3_3_3_7_5_wgs_126_tpt_126_halfLds_sp_ip_CI_unitstride_sbrr_C2R_dirReg
		.amdhsa_group_segment_fixed_size 0
		.amdhsa_private_segment_fixed_size 0
		.amdhsa_kernarg_size 88
		.amdhsa_user_sgpr_count 6
		.amdhsa_user_sgpr_private_segment_buffer 1
		.amdhsa_user_sgpr_dispatch_ptr 0
		.amdhsa_user_sgpr_queue_ptr 0
		.amdhsa_user_sgpr_kernarg_segment_ptr 1
		.amdhsa_user_sgpr_dispatch_id 0
		.amdhsa_user_sgpr_flat_scratch_init 0
		.amdhsa_user_sgpr_private_segment_size 0
		.amdhsa_uses_dynamic_stack 0
		.amdhsa_system_sgpr_private_segment_wavefront_offset 0
		.amdhsa_system_sgpr_workgroup_id_x 1
		.amdhsa_system_sgpr_workgroup_id_y 0
		.amdhsa_system_sgpr_workgroup_id_z 0
		.amdhsa_system_sgpr_workgroup_info 0
		.amdhsa_system_vgpr_workitem_id 0
		.amdhsa_next_free_vgpr 73
		.amdhsa_next_free_sgpr 22
		.amdhsa_reserve_vcc 1
		.amdhsa_reserve_flat_scratch 0
		.amdhsa_float_round_mode_32 0
		.amdhsa_float_round_mode_16_64 0
		.amdhsa_float_denorm_mode_32 3
		.amdhsa_float_denorm_mode_16_64 3
		.amdhsa_dx10_clamp 1
		.amdhsa_ieee_mode 1
		.amdhsa_fp16_overflow 0
		.amdhsa_exception_fp_ieee_invalid_op 0
		.amdhsa_exception_fp_denorm_src 0
		.amdhsa_exception_fp_ieee_div_zero 0
		.amdhsa_exception_fp_ieee_overflow 0
		.amdhsa_exception_fp_ieee_underflow 0
		.amdhsa_exception_fp_ieee_inexact 0
		.amdhsa_exception_int_div_zero 0
	.end_amdhsa_kernel
	.text
.Lfunc_end0:
	.size	fft_rtc_fwd_len1890_factors_2_3_3_3_7_5_wgs_126_tpt_126_halfLds_sp_ip_CI_unitstride_sbrr_C2R_dirReg, .Lfunc_end0-fft_rtc_fwd_len1890_factors_2_3_3_3_7_5_wgs_126_tpt_126_halfLds_sp_ip_CI_unitstride_sbrr_C2R_dirReg
                                        ; -- End function
	.section	.AMDGPU.csdata,"",@progbits
; Kernel info:
; codeLenInByte = 10984
; NumSgprs: 26
; NumVgprs: 73
; ScratchSize: 0
; MemoryBound: 0
; FloatMode: 240
; IeeeMode: 1
; LDSByteSize: 0 bytes/workgroup (compile time only)
; SGPRBlocks: 3
; VGPRBlocks: 18
; NumSGPRsForWavesPerEU: 26
; NumVGPRsForWavesPerEU: 73
; Occupancy: 3
; WaveLimiterHint : 1
; COMPUTE_PGM_RSRC2:SCRATCH_EN: 0
; COMPUTE_PGM_RSRC2:USER_SGPR: 6
; COMPUTE_PGM_RSRC2:TRAP_HANDLER: 0
; COMPUTE_PGM_RSRC2:TGID_X_EN: 1
; COMPUTE_PGM_RSRC2:TGID_Y_EN: 0
; COMPUTE_PGM_RSRC2:TGID_Z_EN: 0
; COMPUTE_PGM_RSRC2:TIDIG_COMP_CNT: 0
	.type	__hip_cuid_c2415dbb83e461b2,@object ; @__hip_cuid_c2415dbb83e461b2
	.section	.bss,"aw",@nobits
	.globl	__hip_cuid_c2415dbb83e461b2
__hip_cuid_c2415dbb83e461b2:
	.byte	0                               ; 0x0
	.size	__hip_cuid_c2415dbb83e461b2, 1

	.ident	"AMD clang version 19.0.0git (https://github.com/RadeonOpenCompute/llvm-project roc-6.4.0 25133 c7fe45cf4b819c5991fe208aaa96edf142730f1d)"
	.section	".note.GNU-stack","",@progbits
	.addrsig
	.addrsig_sym __hip_cuid_c2415dbb83e461b2
	.amdgpu_metadata
---
amdhsa.kernels:
  - .args:
      - .actual_access:  read_only
        .address_space:  global
        .offset:         0
        .size:           8
        .value_kind:     global_buffer
      - .offset:         8
        .size:           8
        .value_kind:     by_value
      - .actual_access:  read_only
        .address_space:  global
        .offset:         16
        .size:           8
        .value_kind:     global_buffer
      - .actual_access:  read_only
        .address_space:  global
        .offset:         24
        .size:           8
        .value_kind:     global_buffer
      - .offset:         32
        .size:           8
        .value_kind:     by_value
      - .actual_access:  read_only
        .address_space:  global
        .offset:         40
        .size:           8
        .value_kind:     global_buffer
      - .actual_access:  read_only
        .address_space:  global
        .offset:         48
        .size:           8
        .value_kind:     global_buffer
      - .offset:         56
        .size:           4
        .value_kind:     by_value
      - .actual_access:  read_only
        .address_space:  global
        .offset:         64
        .size:           8
        .value_kind:     global_buffer
      - .actual_access:  read_only
        .address_space:  global
        .offset:         72
        .size:           8
        .value_kind:     global_buffer
      - .address_space:  global
        .offset:         80
        .size:           8
        .value_kind:     global_buffer
    .group_segment_fixed_size: 0
    .kernarg_segment_align: 8
    .kernarg_segment_size: 88
    .language:       OpenCL C
    .language_version:
      - 2
      - 0
    .max_flat_workgroup_size: 126
    .name:           fft_rtc_fwd_len1890_factors_2_3_3_3_7_5_wgs_126_tpt_126_halfLds_sp_ip_CI_unitstride_sbrr_C2R_dirReg
    .private_segment_fixed_size: 0
    .sgpr_count:     26
    .sgpr_spill_count: 0
    .symbol:         fft_rtc_fwd_len1890_factors_2_3_3_3_7_5_wgs_126_tpt_126_halfLds_sp_ip_CI_unitstride_sbrr_C2R_dirReg.kd
    .uniform_work_group_size: 1
    .uses_dynamic_stack: false
    .vgpr_count:     73
    .vgpr_spill_count: 0
    .wavefront_size: 64
amdhsa.target:   amdgcn-amd-amdhsa--gfx906
amdhsa.version:
  - 1
  - 2
...

	.end_amdgpu_metadata
